;; amdgpu-corpus repo=ROCm/aiter kind=harvested arch=n/a opt=n/a

/root/src/amdgpu-assembly/repos/ROCm__aiter/hsa/gfx950/bf16gemm/bf16gemm_fp32bf16_tn_128x64_bshuffle_splitk.co:	file format elf64-amdgpu

Disassembly of section .text:

0000000000002900 <_ZN5aiter43bf16gemm_fp32bf16_tn_128x64_bshuffle_splitkE>:
	s_mov_b32 s49, s4                                          // 000000002900: BEB10004
	s_and_b32 s1, s1, 0xffff                                   // 000000002904: 8601FF01 0000FFFF
	s_load_dword s25, s[0:1], 0xe0                             // 00000000290C: C0020640 000000E0
	s_load_dword s26, s[0:1], 0xf0                             // 000000002914: C0020680 000000F0
	s_load_dword s27, s[0:1], 0x100                            // 00000000291C: C00206C0 00000100
	s_load_dword s28, s[0:1], 0xa0                             // 000000002924: C0020700 000000A0
	s_load_dword s29, s[0:1], 0xc0                             // 00000000292C: C0020740 000000C0
	s_load_dword s30, s[0:1], 0x80                             // 000000002934: C0020780 00000080
	s_load_dword s20, s[0:1], 0x40                             // 00000000293C: C0020500 00000040
	s_load_dword s21, s[0:1], 0x50                             // 000000002944: C0020540 00000050
	s_load_dwordx2 s[4:5], s[0:1], 0x20                        // 00000000294C: C0060100 00000020
	s_load_dwordx2 s[8:9], s[0:1], 0x30                        // 000000002954: C0060200 00000030
	s_load_dwordx2 s[12:13], s[0:1], 0x10                      // 00000000295C: C0060300 00000010
	s_load_dwordx2 s[16:17], s[0:1], 0x0                       // 000000002964: C0060400 00000000
	s_load_dword s48, s[0:1], 0x110                            // 00000000296C: C0020C00 00000110
	s_load_dword s50, s[0:1], 0x120                            // 000000002974: C0020C80 00000120
	s_load_dwordx2 s[36:37], s[0:1], 0x130                     // 00000000297C: C0060900 00000130
	s_load_dword s57, s[0:1], 0x140                            // 000000002984: C0020E40 00000140
	v_lshrrev_b32_e32 v1, 10, v0                               // 00000000298C: 2002008A
	v_lshrrev_b32_e32 v2, 10, v1                               // 000000002990: 2004028A
	v_and_b32_e32 v2, 0x3ff, v2                                // 000000002994: 260404FF 000003FF
	v_and_b32_e32 v1, 0x3ff, v1                                // 00000000299C: 260202FF 000003FF
	v_and_b32_e32 v0, 0x3ff, v0                                // 0000000029A4: 260000FF 000003FF
	v_lshrrev_b32_e32 v3, 6, v0                                // 0000000029AC: 20060086
	v_and_b32_e32 v0, 63, v0                                   // 0000000029B0: 260000BF
	s_mov_b32 s22, s2                                          // 0000000029B4: BE960002
	s_mov_b32 s23, s3                                          // 0000000029B8: BE970003
	v_readfirstlane_b32 s24, v3                                // 0000000029BC: 7E300503
	s_waitcnt lgkmcnt(0)                                       // 0000000029C0: BF8CC07F
	s_mov_b32 s18, -16                                         // 0000000029C4: BE9200D0
	s_mov_b32 s14, -16                                         // 0000000029C8: BE8E00D0
	s_mov_b32 s10, -16                                         // 0000000029CC: BE8A00D0
	s_mov_b32 s6, -16                                          // 0000000029D0: BE8600D0
	s_mov_b32 s38, -16                                         // 0000000029D4: BEA600D0
	s_mov_b32 s19, 0x20000                                     // 0000000029D8: BE9300FF 00020000
	s_mov_b32 s15, 0x20000                                     // 0000000029E0: BE8F00FF 00020000
	s_mov_b32 s11, 0x20000                                     // 0000000029E8: BE8B00FF 00020000
	s_mov_b32 s7, 0x20000                                      // 0000000029F0: BE8700FF 00020000
	s_mov_b32 s39, 0x20000                                     // 0000000029F8: BEA700FF 00020000
	s_and_b32 s17, s17, 0xffff                                 // 000000002A00: 8611FF11 0000FFFF
	s_and_b32 s13, s13, 0xffff                                 // 000000002A08: 860DFF0D 0000FFFF
	s_and_b32 s9, s9, 0xffff                                   // 000000002A10: 8609FF09 0000FFFF
	s_and_b32 s5, s5, 0xffff                                   // 000000002A18: 8605FF05 0000FFFF
	s_and_b32 s37, s37, 0xffff                                 // 000000002A20: 8625FF25 0000FFFF
	s_or_b32 s17, s17, 0x40000                                 // 000000002A28: 8711FF11 00040000
	s_or_b32 s13, s13, 0x40000                                 // 000000002A30: 870DFF0D 00040000
	s_or_b32 s9, s9, 0x40000                                   // 000000002A38: 8709FF09 00040000
	s_or_b32 s5, s5, 0x40000                                   // 000000002A40: 8705FF05 00040000
	s_or_b32 s37, s37, 0x40000                                 // 000000002A48: 8725FF25 00040000
	s_mov_b32 s35, 0x7060302                                   // 000000002A50: BEA300FF 07060302
	v_mov_b32_e32 v9, 0xffff0000                               // 000000002A58: 7E1202FF FFFF0000
	v_mov_b32_e32 v10, 0x7fff0000                              // 000000002A60: 7E1402FF 7FFF0000
	v_mov_b32_e32 v11, 0x7fff                                  // 000000002A68: 7E1602FF 00007FFF
	s_mul_i32 s31, s28, s25                                    // 000000002A70: 921F191C
	s_mov_b32 s6, s31                                          // 000000002A74: BE86001F
	s_mov_b32 s40, 0x80                                        // 000000002A78: BEA800FF 00000080
	v_lshrrev_b32_e32 v4, 5, v0                                // 000000002A80: 20080085
	v_lshlrev_b32_e32 v4, 2, v4                                // 000000002A84: 24080882
	v_mul_lo_u32 v21, v4, s28                                  // 000000002A88: D2850015 00003904
	v_and_b32_e32 v4, 31, v0                                   // 000000002A90: 2608009F
	v_lshlrev_b32_e32 v4, 2, v4                                // 000000002A94: 24080882
	v_add_u32_e32 v21, v21, v4                                 // 000000002A98: 682A0915
	s_mul_i32 s31, 8, s28                                      // 000000002A9C: 921F1C88
	v_add_u32_e64 v22, v21, s31                                // 000000002AA0: D1340016 00003F15
	v_add_u32_e64 v23, v22, s31                                // 000000002AA8: D1340017 00003F16
	v_add_u32_e64 v24, v23, s31                                // 000000002AB0: D1340018 00003F17
	v_add_u32_e64 v25, v24, s31                                // 000000002AB8: D1340019 00003F18
	v_add_u32_e64 v26, v25, s31                                // 000000002AC0: D134001A 00003F19
	v_add_u32_e64 v27, v26, s31                                // 000000002AC8: D134001B 00003F1A
	v_add_u32_e64 v28, v27, s31                                // 000000002AD0: D134001C 00003F1B
	v_add_u32_e64 v29, v28, s31                                // 000000002AD8: D134001D 00003F1C
	v_add_u32_e64 v30, v29, s31                                // 000000002AE0: D134001E 00003F1D
	v_add_u32_e64 v31, v30, s31                                // 000000002AE8: D134001F 00003F1E
	v_add_u32_e64 v32, v31, s31                                // 000000002AF0: D1340020 00003F1F
	v_add_u32_e64 v33, v32, s31                                // 000000002AF8: D1340021 00003F20
	v_add_u32_e64 v34, v33, s31                                // 000000002B00: D1340022 00003F21
	v_add_u32_e64 v35, v34, s31                                // 000000002B08: D1340023 00003F22
	v_add_u32_e64 v36, v35, s31                                // 000000002B10: D1340024 00003F23
	s_mul_i32 s31, s23, 0x80                                   // 000000002B18: 921FFF17 00000080
	s_add_u32 s31, s31, s24                                    // 000000002B20: 801F181F
	s_mul_i32 s32, s31, s28                                    // 000000002B24: 92201C1F
	v_add_u32_e64 v21, v21, s32                                // 000000002B28: D1340015 00004115
	v_add_u32_e64 v22, v22, s32                                // 000000002B30: D1340016 00004116
	v_add_u32_e64 v23, v23, s32                                // 000000002B38: D1340017 00004117
	v_add_u32_e64 v24, v24, s32                                // 000000002B40: D1340018 00004118
	v_add_u32_e64 v25, v25, s32                                // 000000002B48: D1340019 00004119
	v_add_u32_e64 v26, v26, s32                                // 000000002B50: D134001A 0000411A
	v_add_u32_e64 v27, v27, s32                                // 000000002B58: D134001B 0000411B
	v_add_u32_e64 v28, v28, s32                                // 000000002B60: D134001C 0000411C
	v_add_u32_e64 v29, v29, s32                                // 000000002B68: D134001D 0000411D
	v_add_u32_e64 v30, v30, s32                                // 000000002B70: D134001E 0000411E
	v_add_u32_e64 v31, v31, s32                                // 000000002B78: D134001F 0000411F
	v_add_u32_e64 v32, v32, s32                                // 000000002B80: D1340020 00004120
	v_add_u32_e64 v33, v33, s32                                // 000000002B88: D1340021 00004121
	v_add_u32_e64 v34, v34, s32                                // 000000002B90: D1340022 00004122
	v_add_u32_e64 v35, v35, s32                                // 000000002B98: D1340023 00004123
	v_add_u32_e64 v36, v36, s32                                // 000000002BA0: D1340024 00004124
	v_lshrrev_b32_e32 v4, 4, v0                                // 000000002BA8: 20080084
	v_lshlrev_b32_e32 v5, 2, v4                                // 000000002BAC: 240A0882
	v_and_b32_e32 v4, 15, v0                                   // 000000002BB0: 2608008F
	v_lshrrev_b32_e32 v6, 2, v4                                // 000000002BB4: 200C0882
	v_lshlrev_b32_e32 v6, 5, v6                                // 000000002BB8: 240C0C85
	v_add_u32_e32 v5, v6, v5                                   // 000000002BBC: 680A0B06
	v_and_b32_e32 v4, 3, v0                                    // 000000002BC0: 26080083
	v_mul_u32_u24_e32 v6, 0x408, v4                            // 000000002BC4: 100C08FF 00000408
	v_add_u32_e32 v5, v6, v5                                   // 000000002BCC: 680A0B06
	v_lshlrev_b32_e32 v37, 2, v5                               // 000000002BD0: 244A0A82
	s_mul_i32 s31, s24, 0x1020                                 // 000000002BD4: 921FFF18 00001020
	s_add_u32 s42, 0, s31                                      // 000000002BDC: 802A1F80
	s_add_u32 s43, 0x4080, s42                                 // 000000002BE0: 802B2AFF 00004080
	s_add_u32 s44, 0x4080, s43                                 // 000000002BE8: 802C2BFF 00004080
	s_mul_i32 s31, s29, s26                                    // 000000002BF0: 921F1A1D
	s_mov_b32 s10, s31                                         // 000000002BF4: BE8A001F
	s_mov_b32 s41, 0x800                                       // 000000002BF8: BEA900FF 00000800
	v_lshlrev_b32_e32 v38, 4, v0                               // 000000002C00: 244C0084
	s_mov_b32 s31, 0x400                                       // 000000002C04: BE9F00FF 00000400
	v_add_u32_e64 v39, v38, s31                                // 000000002C0C: D1340027 00003F26
	s_mul_i32 s31, s22, 64                                     // 000000002C14: 921FC016
	s_mul_i32 s32, 16, s24                                     // 000000002C18: 92201890
	s_add_u32 s31, s31, s32                                    // 000000002C1C: 801F201F
	s_mul_i32 s32, s31, s29                                    // 000000002C20: 92201D1F
	v_add_u32_e64 v38, v38, s32                                // 000000002C24: D1340026 00004126
	v_add_u32_e64 v39, v39, s32                                // 000000002C2C: D1340027 00004127
	s_cmp_le_u32 s48, 1                                        // 000000002C34: BF0B8130
	s_cbranch_scc1 label_011D                                  // 000000002C38: BF85004E
	s_lshr_b32 s32, s27, 6                                     // 000000002C3C: 8F20861B
	v_cvt_f32_u32_e32 v4, s48                                  // 000000002C40: 7E080C30
	s_sub_i32 s31, 0, s48                                      // 000000002C44: 819F3080
	v_rcp_iflag_f32_e32 v4, v4                                 // 000000002C48: 7E084704
	s_nop 0                                                    // 000000002C4C: BF800000
	v_mul_f32_e32 v4, 0x4f7ffffe, v4                           // 000000002C50: 0A0808FF 4F7FFFFE
	v_cvt_u32_f32_e32 v4, v4                                   // 000000002C58: 7E080F04
	v_mul_lo_u32 v5, s31, v4                                   // 000000002C5C: D2850005 0002081F
	v_mul_hi_u32 v5, v4, v5                                    // 000000002C64: D2860005 00020B04
	v_add_u32_e32 v4, v4, v5                                   // 000000002C6C: 68080B04
	v_mul_hi_u32 v4, s32, v4                                   // 000000002C70: D2860004 00020820
	v_mul_lo_u32 v5, v4, s48                                   // 000000002C78: D2850005 00006104
	v_sub_u32_e32 v7, s32, v5                                  // 000000002C80: 6A0E0A20
	v_add_u32_e32 v6, 1, v4                                    // 000000002C84: 680C0881
	v_cmp_le_u32_e32 vcc, s48, v7                              // 000000002C88: 7D960E30
	v_subrev_u32_e32 v5, s48, v7                               // 000000002C8C: 6C0A0E30
	s_nop 0                                                    // 000000002C90: BF800000
	v_cndmask_b32_e32 v4, v4, v6, vcc                          // 000000002C94: 00080D04
	v_cndmask_b32_e32 v7, v7, v5, vcc                          // 000000002C98: 000E0B07
	v_add_u32_e32 v5, 1, v4                                    // 000000002C9C: 680A0881
	v_cmp_le_u32_e32 vcc, s48, v7                              // 000000002CA0: 7D960E30
	s_nop 1                                                    // 000000002CA4: BF800001
	v_cndmask_b32_e32 v7, v4, v5, vcc                          // 000000002CA8: 000E0B04
	s_nop 3                                                    // 000000002CAC: BF800003
	v_readfirstlane_b32 s32, v7                                // 000000002CB0: 7E400507
	s_nop 3                                                    // 000000002CB4: BF800003
	s_mul_i32 s32, s32, 64                                     // 000000002CB8: 9220C020
	s_mul_i32 s31, s49, s32                                    // 000000002CBC: 921F2031
	s_sub_i32 s52, s27, s31                                    // 000000002CC0: 81B41F1B
	s_sub_i32 s31, s48, 1                                      // 000000002CC4: 819F8130
	s_cmp_eq_i32 s49, s31                                      // 000000002CC8: BF001F31
	s_cselect_b32 s27, s52, s32                                // 000000002CCC: 851B2034
	s_mul_i32 s31, s32, 2                                      // 000000002CD0: 921F8220
	s_mul_i32 s31, s31, s49                                    // 000000002CD4: 921F311F
	v_add_u32_e64 v21, v21, s31                                // 000000002CD8: D1340015 00003F15
	v_add_u32_e64 v22, v22, s31                                // 000000002CE0: D1340016 00003F16
	v_add_u32_e64 v23, v23, s31                                // 000000002CE8: D1340017 00003F17
	v_add_u32_e64 v24, v24, s31                                // 000000002CF0: D1340018 00003F18
	v_add_u32_e64 v25, v25, s31                                // 000000002CF8: D1340019 00003F19
	v_add_u32_e64 v26, v26, s31                                // 000000002D00: D134001A 00003F1A
	v_add_u32_e64 v27, v27, s31                                // 000000002D08: D134001B 00003F1B
	v_add_u32_e64 v28, v28, s31                                // 000000002D10: D134001C 00003F1C
	v_add_u32_e64 v29, v29, s31                                // 000000002D18: D134001D 00003F1D
	v_add_u32_e64 v30, v30, s31                                // 000000002D20: D134001E 00003F1E
	v_add_u32_e64 v31, v31, s31                                // 000000002D28: D134001F 00003F1F
	v_add_u32_e64 v32, v32, s31                                // 000000002D30: D1340020 00003F20
	v_add_u32_e64 v33, v33, s31                                // 000000002D38: D1340021 00003F21
	v_add_u32_e64 v34, v34, s31                                // 000000002D40: D1340022 00003F22
	v_add_u32_e64 v35, v35, s31                                // 000000002D48: D1340023 00003F23
	v_add_u32_e64 v36, v36, s31                                // 000000002D50: D1340024 00003F24
	s_mul_i32 s31, s32, 2                                      // 000000002D58: 921F8220
	s_mul_i32 s31, s31, s49                                    // 000000002D5C: 921F311F
	s_mul_i32 s31, s31, 16                                     // 000000002D60: 921F901F
	v_add_u32_e64 v38, v38, s31                                // 000000002D64: D1340026 00003F26
	v_add_u32_e64 v39, v39, s31                                // 000000002D6C: D1340027 00003F27

0000000000002d74 <label_011D>:
	s_mul_i32 s31, s30, s25                                    // 000000002D74: 921F191E
	s_mov_b32 s18, s31                                         // 000000002D78: BE92001F
	s_cmp_lt_u32 s50, 1                                        // 000000002D7C: BF0A8132
	s_cbranch_scc0 label_0143                                  // 000000002D80: BF840022
	v_and_b32_e64 v12, v0, 15                                  // 000000002D84: D113000C 00011F00
	v_mul_lo_u32 v12, v12, s30                                 // 000000002D8C: D285000C 00003D0C
	v_lshrrev_b32_e32 v4, 4, v0                                // 000000002D94: 20080084
	v_mul_i32_i24_e32 v4, 16, v4                               // 000000002D98: 0C080890
	v_add_u32_e32 v12, v4, v12                                 // 000000002D9C: 68181904
	s_mul_i32 s31, s23, 0x80                                   // 000000002DA0: 921FFF17 00000080
	s_mul_i32 s31, s31, s30                                    // 000000002DA8: 921F1E1F
	v_add_u32_e32 v12, s31, v12                                // 000000002DAC: 6818181F
	s_mul_i32 s31, s22, 64                                     // 000000002DB0: 921FC016
	s_mul_i32 s31, s31, 4                                      // 000000002DB4: 921F841F
	v_add_u32_e32 v12, s31, v12                                // 000000002DB8: 6818181F
	s_mul_i32 s31, 64, s24                                     // 000000002DBC: 921F18C0
	v_add_u32_e32 v12, s31, v12                                // 000000002DC0: 6818181F
	s_mul_i32 s31, 16, s30                                     // 000000002DC4: 921F1E90
	v_add_u32_e32 v13, s31, v12                                // 000000002DC8: 681A181F
	v_add_u32_e32 v14, s31, v13                                // 000000002DCC: 681C1A1F
	v_add_u32_e32 v15, s31, v14                                // 000000002DD0: 681E1C1F
	v_add_u32_e32 v16, s31, v15                                // 000000002DD4: 68201E1F
	v_add_u32_e32 v17, s31, v16                                // 000000002DD8: 6822201F
	v_add_u32_e32 v18, s31, v17                                // 000000002DDC: 6824221F
	v_add_u32_e32 v19, s31, v18                                // 000000002DE0: 6826241F
	s_mul_i32 s31, s23, 0x80                                   // 000000002DE4: 921FFF17 00000080
	s_add_i32 s31, s31, s24                                    // 000000002DEC: 811F181F
	s_mul_i32 s31, s31, s30                                    // 000000002DF0: 921F1E1F
	s_mul_i32 s32, s22, 64                                     // 000000002DF4: 9220C016
	s_mul_i32 s32, s32, 4                                      // 000000002DF8: 92208420
	s_add_i32 s31, s31, s32                                    // 000000002DFC: 811F201F
	v_lshlrev_b32_e32 v20, 2, v0                               // 000000002E00: 24280082
	v_add_u32_e32 v20, s31, v20                                // 000000002E04: 6828281F
	s_branch label_016A                                        // 000000002E08: BF820027

0000000000002e0c <label_0143>:
	v_and_b32_e64 v12, v0, 15                                  // 000000002E0C: D113000C 00011F00
	v_mul_lo_u32 v12, v12, s30                                 // 000000002E14: D285000C 00003D0C
	v_lshrrev_b32_e32 v4, 4, v0                                // 000000002E1C: 20080084
	v_mul_i32_i24_e32 v4, 8, v4                                // 000000002E20: 0C080888
	v_add_u32_e32 v12, v4, v12                                 // 000000002E24: 68181904
	s_mul_i32 s31, s23, 0x80                                   // 000000002E28: 921FFF17 00000080
	s_mul_i32 s31, s31, s30                                    // 000000002E30: 921F1E1F
	v_add_u32_e32 v12, s31, v12                                // 000000002E34: 6818181F
	s_mul_i32 s31, s22, 64                                     // 000000002E38: 921FC016
	s_mul_i32 s31, s31, 2                                      // 000000002E3C: 921F821F
	v_add_u32_e32 v12, s31, v12                                // 000000002E40: 6818181F
	s_mul_i32 s31, 32, s24                                     // 000000002E44: 921F18A0
	v_add_u32_e32 v12, s31, v12                                // 000000002E48: 6818181F
	s_mul_i32 s31, 16, s30                                     // 000000002E4C: 921F1E90
	v_add_u32_e32 v13, s31, v12                                // 000000002E50: 681A181F
	v_add_u32_e32 v14, s31, v13                                // 000000002E54: 681C1A1F
	v_add_u32_e32 v15, s31, v14                                // 000000002E58: 681E1C1F
	v_add_u32_e32 v16, s31, v15                                // 000000002E5C: 68201E1F
	v_add_u32_e32 v17, s31, v16                                // 000000002E60: 6822201F
	v_add_u32_e32 v18, s31, v17                                // 000000002E64: 6824221F
	v_add_u32_e32 v19, s31, v18                                // 000000002E68: 6826241F
	s_mul_i32 s31, s23, 0x80                                   // 000000002E6C: 921FFF17 00000080
	s_add_i32 s31, s31, s24                                    // 000000002E74: 811F181F
	s_mul_i32 s31, s31, s30                                    // 000000002E78: 921F1E1F
	s_mul_i32 s32, s22, 64                                     // 000000002E7C: 9220C016
	s_mul_i32 s32, s32, 2                                      // 000000002E80: 92208220
	s_add_i32 s31, s31, s32                                    // 000000002E84: 811F201F
	v_lshrrev_b32_e32 v4, 5, v0                                // 000000002E88: 20080085
	s_mul_i32 s32, s30, 4                                      // 000000002E8C: 9220841E
	v_mul_lo_u32 v4, v4, s32                                   // 000000002E90: D2850004 00004104
	v_and_b32_e32 v5, 31, v0                                   // 000000002E98: 260A009F
	v_lshlrev_b32_e32 v5, 2, v5                                // 000000002E9C: 240A0A82
	v_add_u32_e32 v20, v4, v5                                  // 000000002EA0: 68280B04
	v_add_u32_e32 v20, s31, v20                                // 000000002EA4: 6828281F

0000000000002ea8 <label_016A>:
	s_cmp_eq_u32 s57, 1                                        // 000000002EA8: BF068139
	s_cbranch_scc0 label_01AD                                  // 000000002EAC: BF840041
	s_cmp_eq_i32 s49, 0                                        // 000000002EB0: BF008031
	s_cbranch_scc0 label_01AD                                  // 000000002EB4: BF84003F
	s_mul_i32 s31, 2, s26                                      // 000000002EB8: 921F1A82
	s_mov_b32 s38, s31                                         // 000000002EBC: BEA6001F
	v_lshrrev_b32_e32 v4, 4, v0                                // 000000002EC0: 20080084
	v_mul_i32_i24_e32 v92, 8, v4                               // 000000002EC4: 0CB80888
	s_mul_i32 s31, 32, s24                                     // 000000002EC8: 921F18A0
	v_add_u32_e32 v92, s31, v92                                // 000000002ECC: 68B8B81F
	s_mul_i32 s32, s22, 64                                     // 000000002ED0: 9220C016
	s_mul_i32 s32, s32, 2                                      // 000000002ED4: 92208220
	v_add_u32_e32 v92, s32, v92                                // 000000002ED8: 68B8B820
	v_mov_b32_e32 v94, 0                                       // 000000002EDC: 7EBC0280
	v_mov_b32_e32 v95, 0                                       // 000000002EE0: 7EBE0280
	buffer_load_dwordx2 v[94:95], v92, s[36:39], 0 offen       // 000000002EE4: E0541000 80095E5C
	s_waitcnt vmcnt(0)                                         // 000000002EEC: BF8C0F70
	v_mov_b32_e32 v4, 0xffff0000                               // 000000002EF0: 7E0802FF FFFF0000
	v_and_b32_e32 v4, v94, v4                                  // 000000002EF8: 2608095E
	v_mov_b32_e32 v5, 0xffff                                   // 000000002EFC: 7E0A02FF 0000FFFF
	v_and_b32_e32 v5, v94, v5                                  // 000000002F04: 260A0B5E
	v_mov_b32_e32 v97, v4                                      // 000000002F08: 7EC20304
	v_lshlrev_b32_e32 v96, 16, v5                              // 000000002F0C: 24C00A90
	v_mov_b32_e32 v4, 0xffff0000                               // 000000002F10: 7E0802FF FFFF0000
	v_and_b32_e32 v4, v95, v4                                  // 000000002F18: 2608095F
	v_mov_b32_e32 v5, 0xffff                                   // 000000002F1C: 7E0A02FF 0000FFFF
	v_and_b32_e32 v5, v95, v5                                  // 000000002F24: 260A0B5F
	v_mov_b32_e32 v99, v4                                      // 000000002F28: 7EC60304
	v_lshlrev_b32_e32 v98, 16, v5                              // 000000002F2C: 24C40A90
	v_mov_b32_e32 v44, v96                                     // 000000002F30: 7E580360
	v_mov_b32_e32 v45, v97                                     // 000000002F34: 7E5A0361
	v_mov_b32_e32 v46, v98                                     // 000000002F38: 7E5C0362
	v_mov_b32_e32 v47, v99                                     // 000000002F3C: 7E5E0363
	v_mov_b32_e32 v48, v96                                     // 000000002F40: 7E600360
	v_mov_b32_e32 v49, v97                                     // 000000002F44: 7E620361
	v_mov_b32_e32 v50, v98                                     // 000000002F48: 7E640362
	v_mov_b32_e32 v51, v99                                     // 000000002F4C: 7E660363
	v_mov_b32_e32 v52, v96                                     // 000000002F50: 7E680360
	v_mov_b32_e32 v53, v97                                     // 000000002F54: 7E6A0361
	v_mov_b32_e32 v54, v98                                     // 000000002F58: 7E6C0362
	v_mov_b32_e32 v55, v99                                     // 000000002F5C: 7E6E0363
	v_mov_b32_e32 v56, v96                                     // 000000002F60: 7E700360
	v_mov_b32_e32 v57, v97                                     // 000000002F64: 7E720361
	v_mov_b32_e32 v58, v98                                     // 000000002F68: 7E740362
	v_mov_b32_e32 v59, v99                                     // 000000002F6C: 7E760363
	v_mov_b32_e32 v60, v96                                     // 000000002F70: 7E780360
	v_mov_b32_e32 v61, v97                                     // 000000002F74: 7E7A0361
	v_mov_b32_e32 v62, v98                                     // 000000002F78: 7E7C0362
	v_mov_b32_e32 v63, v99                                     // 000000002F7C: 7E7E0363
	v_mov_b32_e32 v64, v96                                     // 000000002F80: 7E800360
	v_mov_b32_e32 v65, v97                                     // 000000002F84: 7E820361
	v_mov_b32_e32 v66, v98                                     // 000000002F88: 7E840362
	v_mov_b32_e32 v67, v99                                     // 000000002F8C: 7E860363
	v_mov_b32_e32 v68, v96                                     // 000000002F90: 7E880360
	v_mov_b32_e32 v69, v97                                     // 000000002F94: 7E8A0361
	v_mov_b32_e32 v70, v98                                     // 000000002F98: 7E8C0362
	v_mov_b32_e32 v71, v99                                     // 000000002F9C: 7E8E0363
	v_mov_b32_e32 v72, v96                                     // 000000002FA0: 7E900360
	v_mov_b32_e32 v73, v97                                     // 000000002FA4: 7E920361
	v_mov_b32_e32 v74, v98                                     // 000000002FA8: 7E940362
	v_mov_b32_e32 v75, v99                                     // 000000002FAC: 7E960363
	s_branch label_01CD                                        // 000000002FB0: BF820020

0000000000002fb4 <label_01AD>:
	v_mov_b32_e32 v44, 0                                       // 000000002FB4: 7E580280
	v_mov_b32_e32 v45, 0                                       // 000000002FB8: 7E5A0280
	v_mov_b32_e32 v46, 0                                       // 000000002FBC: 7E5C0280
	v_mov_b32_e32 v47, 0                                       // 000000002FC0: 7E5E0280
	v_mov_b32_e32 v48, 0                                       // 000000002FC4: 7E600280
	v_mov_b32_e32 v49, 0                                       // 000000002FC8: 7E620280
	v_mov_b32_e32 v50, 0                                       // 000000002FCC: 7E640280
	v_mov_b32_e32 v51, 0                                       // 000000002FD0: 7E660280
	v_mov_b32_e32 v52, 0                                       // 000000002FD4: 7E680280
	v_mov_b32_e32 v53, 0                                       // 000000002FD8: 7E6A0280
	v_mov_b32_e32 v54, 0                                       // 000000002FDC: 7E6C0280
	v_mov_b32_e32 v55, 0                                       // 000000002FE0: 7E6E0280
	v_mov_b32_e32 v56, 0                                       // 000000002FE4: 7E700280
	v_mov_b32_e32 v57, 0                                       // 000000002FE8: 7E720280
	v_mov_b32_e32 v58, 0                                       // 000000002FEC: 7E740280
	v_mov_b32_e32 v59, 0                                       // 000000002FF0: 7E760280
	v_mov_b32_e32 v60, 0                                       // 000000002FF4: 7E780280
	v_mov_b32_e32 v61, 0                                       // 000000002FF8: 7E7A0280
	v_mov_b32_e32 v62, 0                                       // 000000002FFC: 7E7C0280
	v_mov_b32_e32 v63, 0                                       // 000000003000: 7E7E0280
	v_mov_b32_e32 v64, 0                                       // 000000003004: 7E800280
	v_mov_b32_e32 v65, 0                                       // 000000003008: 7E820280
	v_mov_b32_e32 v66, 0                                       // 00000000300C: 7E840280
	v_mov_b32_e32 v67, 0                                       // 000000003010: 7E860280
	v_mov_b32_e32 v68, 0                                       // 000000003014: 7E880280
	v_mov_b32_e32 v69, 0                                       // 000000003018: 7E8A0280
	v_mov_b32_e32 v70, 0                                       // 00000000301C: 7E8C0280
	v_mov_b32_e32 v71, 0                                       // 000000003020: 7E8E0280
	v_mov_b32_e32 v72, 0                                       // 000000003024: 7E900280
	v_mov_b32_e32 v73, 0                                       // 000000003028: 7E920280
	v_mov_b32_e32 v74, 0                                       // 00000000302C: 7E940280
	v_mov_b32_e32 v75, 0                                       // 000000003030: 7E960280

0000000000003034 <label_01CD>:
	s_add_u32 m0, 0, s42                                       // 000000003034: 807C2A80
	buffer_load_dword v21, s[4:7], 0 offen lds                 // 000000003038: E0511000 80010015
	s_add_u32 m0, 0x100, s42                                   // 000000003040: 807C2AFF 00000100
	buffer_load_dword v22, s[4:7], 0 offen lds                 // 000000003048: E0511000 80010016
	s_add_u32 m0, 0x200, s42                                   // 000000003050: 807C2AFF 00000200
	;; [unrolled: 2-line block ×5, first 2 shown]
	buffer_load_dword v26, s[4:7], 0 offen lds                 // 000000003088: E0511000 8001001A
	s_add_u32 m0, 0x600, s42                                   // 000000003090: 807C2AFF 00000600
	buffer_load_dword v27, s[4:7], 0 offen lds                 // 000000003098: E0511000 8001001B
	s_add_u32 m0, 0x700, s42                                   // 0000000030A0: 807C2AFF 00000700
	buffer_load_dword v28, s[4:7], 0 offen lds                 // 0000000030A8: E0511000 8001001C
	s_add_u32 m0, 0x800, s42                                   // 0000000030B0: 807C2AFF 00000800
	buffer_load_dword v29, s[4:7], 0 offen lds                 // 0000000030B8: E0511000 8001001D
	s_add_u32 m0, 0x900, s42                                   // 0000000030C0: 807C2AFF 00000900
	buffer_load_dword v30, s[4:7], 0 offen lds                 // 0000000030C8: E0511000 8001001E
	s_add_u32 m0, 0xa00, s42                                   // 0000000030D0: 807C2AFF 00000A00
	buffer_load_dword v31, s[4:7], 0 offen lds                 // 0000000030D8: E0511000 8001001F
	s_add_u32 m0, 0xb00, s42                                   // 0000000030E0: 807C2AFF 00000B00
	buffer_load_dword v32, s[4:7], 0 offen lds                 // 0000000030E8: E0511000 80010020
	s_add_u32 m0, 0xc00, s42                                   // 0000000030F0: 807C2AFF 00000C00
	buffer_load_dword v33, s[4:7], 0 offen lds                 // 0000000030F8: E0511000 80010021
	s_add_u32 m0, 0xd00, s42                                   // 000000003100: 807C2AFF 00000D00
	buffer_load_dword v34, s[4:7], 0 offen lds                 // 000000003108: E0511000 80010022
	s_add_u32 m0, 0xe00, s42                                   // 000000003110: 807C2AFF 00000E00
	buffer_load_dword v35, s[4:7], 0 offen lds                 // 000000003118: E0511000 80010023
	s_add_u32 m0, 0xf00, s42                                   // 000000003120: 807C2AFF 00000F00
	buffer_load_dword v36, s[4:7], 0 offen lds                 // 000000003128: E0511000 80010024
	s_add_u32 s4, s40, s4                                      // 000000003130: 80040428
	s_addc_u32 s5, 0, s5                                       // 000000003134: 82050580
	s_sub_u32 s6, s6, s40                                      // 000000003138: 80862806
	buffer_load_dwordx4 a[128:131], v38, s[8:11], 0 offen      // 00000000313C: E05C1000 80828026
	buffer_load_dwordx4 a[132:135], v39, s[8:11], 0 offen      // 000000003144: E05C1000 80828427
	s_add_u32 s8, s41, s8                                      // 00000000314C: 80080829
	s_addc_u32 s9, 0, s9                                       // 000000003150: 82090980
	s_sub_u32 s10, s10, s41                                    // 000000003154: 808A290A
	s_add_u32 m0, 0, s43                                       // 000000003158: 807C2B80
	buffer_load_dword v21, s[4:7], 0 offen lds                 // 00000000315C: E0511000 80010015
	s_add_u32 m0, 0x100, s43                                   // 000000003164: 807C2BFF 00000100
	buffer_load_dword v22, s[4:7], 0 offen lds                 // 00000000316C: E0511000 80010016
	s_add_u32 m0, 0x200, s43                                   // 000000003174: 807C2BFF 00000200
	buffer_load_dword v23, s[4:7], 0 offen lds                 // 00000000317C: E0511000 80010017
	s_add_u32 m0, 0x300, s43                                   // 000000003184: 807C2BFF 00000300
	buffer_load_dword v24, s[4:7], 0 offen lds                 // 00000000318C: E0511000 80010018
	s_add_u32 m0, 0x400, s43                                   // 000000003194: 807C2BFF 00000400
	buffer_load_dword v25, s[4:7], 0 offen lds                 // 00000000319C: E0511000 80010019
	s_add_u32 m0, 0x500, s43                                   // 0000000031A4: 807C2BFF 00000500
	buffer_load_dword v26, s[4:7], 0 offen lds                 // 0000000031AC: E0511000 8001001A
	s_add_u32 m0, 0x600, s43                                   // 0000000031B4: 807C2BFF 00000600
	buffer_load_dword v27, s[4:7], 0 offen lds                 // 0000000031BC: E0511000 8001001B
	s_add_u32 m0, 0x700, s43                                   // 0000000031C4: 807C2BFF 00000700
	buffer_load_dword v28, s[4:7], 0 offen lds                 // 0000000031CC: E0511000 8001001C
	s_add_u32 m0, 0x800, s43                                   // 0000000031D4: 807C2BFF 00000800
	buffer_load_dword v29, s[4:7], 0 offen lds                 // 0000000031DC: E0511000 8001001D
	s_add_u32 m0, 0x900, s43                                   // 0000000031E4: 807C2BFF 00000900
	buffer_load_dword v30, s[4:7], 0 offen lds                 // 0000000031EC: E0511000 8001001E
	s_add_u32 m0, 0xa00, s43                                   // 0000000031F4: 807C2BFF 00000A00
	buffer_load_dword v31, s[4:7], 0 offen lds                 // 0000000031FC: E0511000 8001001F
	s_add_u32 m0, 0xb00, s43                                   // 000000003204: 807C2BFF 00000B00
	buffer_load_dword v32, s[4:7], 0 offen lds                 // 00000000320C: E0511000 80010020
	s_add_u32 m0, 0xc00, s43                                   // 000000003214: 807C2BFF 00000C00
	buffer_load_dword v33, s[4:7], 0 offen lds                 // 00000000321C: E0511000 80010021
	s_add_u32 m0, 0xd00, s43                                   // 000000003224: 807C2BFF 00000D00
	buffer_load_dword v34, s[4:7], 0 offen lds                 // 00000000322C: E0511000 80010022
	s_add_u32 m0, 0xe00, s43                                   // 000000003234: 807C2BFF 00000E00
	buffer_load_dword v35, s[4:7], 0 offen lds                 // 00000000323C: E0511000 80010023
	s_add_u32 m0, 0xf00, s43                                   // 000000003244: 807C2BFF 00000F00
	buffer_load_dword v36, s[4:7], 0 offen lds                 // 00000000324C: E0511000 80010024
	s_add_u32 s4, s40, s4                                      // 000000003254: 80040428
	s_addc_u32 s5, 0, s5                                       // 000000003258: 82050580
	s_sub_u32 s6, s6, s40                                      // 00000000325C: 80862806
	buffer_load_dwordx4 a[136:139], v38, s[8:11], 0 offen      // 000000003260: E05C1000 80828826
	buffer_load_dwordx4 a[140:143], v39, s[8:11], 0 offen      // 000000003268: E05C1000 80828C27
	s_add_u32 s8, s41, s8                                      // 000000003270: 80080829
	s_addc_u32 s9, 0, s9                                       // 000000003274: 82090980
	s_sub_u32 s10, s10, s41                                    // 000000003278: 808A290A
	s_add_u32 m0, 0, s44                                       // 00000000327C: 807C2C80
	buffer_load_dword v21, s[4:7], 0 offen lds                 // 000000003280: E0511000 80010015
	s_add_u32 m0, 0x100, s44                                   // 000000003288: 807C2CFF 00000100
	buffer_load_dword v22, s[4:7], 0 offen lds                 // 000000003290: E0511000 80010016
	s_add_u32 m0, 0x200, s44                                   // 000000003298: 807C2CFF 00000200
	buffer_load_dword v23, s[4:7], 0 offen lds                 // 0000000032A0: E0511000 80010017
	s_add_u32 m0, 0x300, s44                                   // 0000000032A8: 807C2CFF 00000300
	buffer_load_dword v24, s[4:7], 0 offen lds                 // 0000000032B0: E0511000 80010018
	s_add_u32 m0, 0x400, s44                                   // 0000000032B8: 807C2CFF 00000400
	buffer_load_dword v25, s[4:7], 0 offen lds                 // 0000000032C0: E0511000 80010019
	s_add_u32 m0, 0x500, s44                                   // 0000000032C8: 807C2CFF 00000500
	buffer_load_dword v26, s[4:7], 0 offen lds                 // 0000000032D0: E0511000 8001001A
	s_add_u32 m0, 0x600, s44                                   // 0000000032D8: 807C2CFF 00000600
	buffer_load_dword v27, s[4:7], 0 offen lds                 // 0000000032E0: E0511000 8001001B
	s_add_u32 m0, 0x700, s44                                   // 0000000032E8: 807C2CFF 00000700
	buffer_load_dword v28, s[4:7], 0 offen lds                 // 0000000032F0: E0511000 8001001C
	s_add_u32 m0, 0x800, s44                                   // 0000000032F8: 807C2CFF 00000800
	buffer_load_dword v29, s[4:7], 0 offen lds                 // 000000003300: E0511000 8001001D
	s_add_u32 m0, 0x900, s44                                   // 000000003308: 807C2CFF 00000900
	buffer_load_dword v30, s[4:7], 0 offen lds                 // 000000003310: E0511000 8001001E
	s_add_u32 m0, 0xa00, s44                                   // 000000003318: 807C2CFF 00000A00
	buffer_load_dword v31, s[4:7], 0 offen lds                 // 000000003320: E0511000 8001001F
	s_add_u32 m0, 0xb00, s44                                   // 000000003328: 807C2CFF 00000B00
	buffer_load_dword v32, s[4:7], 0 offen lds                 // 000000003330: E0511000 80010020
	s_add_u32 m0, 0xc00, s44                                   // 000000003338: 807C2CFF 00000C00
	buffer_load_dword v33, s[4:7], 0 offen lds                 // 000000003340: E0511000 80010021
	s_add_u32 m0, 0xd00, s44                                   // 000000003348: 807C2CFF 00000D00
	buffer_load_dword v34, s[4:7], 0 offen lds                 // 000000003350: E0511000 80010022
	s_add_u32 m0, 0xe00, s44                                   // 000000003358: 807C2CFF 00000E00
	buffer_load_dword v35, s[4:7], 0 offen lds                 // 000000003360: E0511000 80010023
	s_add_u32 m0, 0xf00, s44                                   // 000000003368: 807C2CFF 00000F00
	buffer_load_dword v36, s[4:7], 0 offen lds                 // 000000003370: E0511000 80010024
	s_add_u32 s4, s40, s4                                      // 000000003378: 80040428
	s_addc_u32 s5, 0, s5                                       // 00000000337C: 82050580
	s_sub_u32 s6, s6, s40                                      // 000000003380: 80862806
	s_mov_b32 s34, s27                                         // 000000003384: BEA2001B
	s_mov_b32 s33, 0                                           // 000000003388: BEA10080
	s_mul_i32 s31, s23, 0x80                                   // 00000000338C: 921FFF17 00000080
	s_sub_i32 s51, s25, s31                                    // 000000003394: 81B31F19
	s_waitcnt vmcnt(36)                                        // 000000003398: BF8C8F74
	s_barrier                                                  // 00000000339C: BF8A0000
	ds_read_b128 a[0:3], v37                                   // 0000000033A0: DBFE0000 00000025
	ds_read_b128 a[4:7], v37 offset:64                         // 0000000033A8: DBFE0040 04000025
	ds_read_b128 a[8:11], v37 offset:512                       // 0000000033B0: DBFE0200 08000025
	ds_read_b128 a[12:15], v37 offset:576                      // 0000000033B8: DBFE0240 0C000025
	ds_read_b128 a[16:19], v37 offset:1024                     // 0000000033C0: DBFE0400 10000025
	ds_read_b128 a[20:23], v37 offset:1088                     // 0000000033C8: DBFE0440 14000025
	ds_read_b128 a[24:27], v37 offset:1536                     // 0000000033D0: DBFE0600 18000025
	ds_read_b128 a[28:31], v37 offset:1600                     // 0000000033D8: DBFE0640 1C000025
	ds_read_b128 a[32:35], v37 offset:2048                     // 0000000033E0: DBFE0800 20000025
	ds_read_b128 a[36:39], v37 offset:2112                     // 0000000033E8: DBFE0840 24000025
	ds_read_b128 a[40:43], v37 offset:2560                     // 0000000033F0: DBFE0A00 28000025
	ds_read_b128 a[44:47], v37 offset:2624                     // 0000000033F8: DBFE0A40 2C000025
	ds_read_b128 a[48:51], v37 offset:3072                     // 000000003400: DBFE0C00 30000025
	ds_read_b128 a[52:55], v37 offset:3136                     // 000000003408: DBFE0C40 34000025
	ds_read_b128 a[56:59], v37 offset:3584                     // 000000003410: DBFE0E00 38000025
	ds_read_b128 a[60:63], v37 offset:3648                     // 000000003418: DBFE0E40 3C000025
	s_cmp_lt_i32 s24, 2                                        // 000000003420: BF048218
	s_cbranch_scc0 label_0703                                  // 000000003424: BF840439

0000000000003428 <label_02CA>:
	s_waitcnt vmcnt(18) lgkmcnt(0)                             // 000000003428: BF8C4072
	s_barrier                                                  // 00000000342C: BF8A0000
	v_mfma_f32_16x16x16_bf16 v[44:47], a[128:129], a[0:1], v[44:47]// 000000003430: D3E1002C 1CB20180
	s_add_u32 m0, 0, s42                                       // 000000003438: 807C2A80
	buffer_load_dword v21, s[4:7], 0 offen lds                 // 00000000343C: E0511000 80010015
	v_mfma_f32_16x16x16_bf16 v[44:47], a[130:131], a[2:3], v[44:47]// 000000003444: D3E1002C 1CB20582
	s_add_u32 m0, 0x100, s42                                   // 00000000344C: 807C2AFF 00000100
	buffer_load_dword v22, s[4:7], 0 offen lds                 // 000000003454: E0511000 80010016
	ds_read_b128 a[64:67], v37 offset:16512                    // 00000000345C: DBFE4080 40000025
	ds_read_b128 a[68:71], v37 offset:16576                    // 000000003464: DBFE40C0 44000025
	v_mfma_f32_16x16x16_bf16 v[44:47], a[132:133], a[4:5], v[44:47]// 00000000346C: D3E1002C 1CB20984
	s_add_u32 m0, 0x200, s42                                   // 000000003474: 807C2AFF 00000200
	buffer_load_dword v23, s[4:7], 0 offen lds                 // 00000000347C: E0511000 80010017
	v_mfma_f32_16x16x16_bf16 v[44:47], a[134:135], a[6:7], v[44:47]// 000000003484: D3E1002C 1CB20D86
	s_add_u32 m0, 0x300, s42                                   // 00000000348C: 807C2AFF 00000300
	buffer_load_dword v24, s[4:7], 0 offen lds                 // 000000003494: E0511000 80010018
	ds_read_b128 a[72:75], v37 offset:17024                    // 00000000349C: DBFE4280 48000025
	ds_read_b128 a[76:79], v37 offset:17088                    // 0000000034A4: DBFE42C0 4C000025
	v_mfma_f32_16x16x16_bf16 v[48:51], a[128:129], a[8:9], v[48:51]// 0000000034AC: D3E10030 1CC21180
	s_add_u32 m0, 0x400, s42                                   // 0000000034B4: 807C2AFF 00000400
	buffer_load_dword v25, s[4:7], 0 offen lds                 // 0000000034BC: E0511000 80010019
	v_mfma_f32_16x16x16_bf16 v[48:51], a[130:131], a[10:11], v[48:51]// 0000000034C4: D3E10030 1CC21582
	s_add_u32 m0, 0x500, s42                                   // 0000000034CC: 807C2AFF 00000500
	buffer_load_dword v26, s[4:7], 0 offen lds                 // 0000000034D4: E0511000 8001001A
	ds_read_b128 a[80:83], v37 offset:17536                    // 0000000034DC: DBFE4480 50000025
	ds_read_b128 a[84:87], v37 offset:17600                    // 0000000034E4: DBFE44C0 54000025
	v_mfma_f32_16x16x16_bf16 v[48:51], a[132:133], a[12:13], v[48:51]// 0000000034EC: D3E10030 1CC21984
	s_add_u32 m0, 0x600, s42                                   // 0000000034F4: 807C2AFF 00000600
	buffer_load_dword v27, s[4:7], 0 offen lds                 // 0000000034FC: E0511000 8001001B
	v_mfma_f32_16x16x16_bf16 v[48:51], a[134:135], a[14:15], v[48:51]// 000000003504: D3E10030 1CC21D86
	s_add_u32 m0, 0x700, s42                                   // 00000000350C: 807C2AFF 00000700
	buffer_load_dword v28, s[4:7], 0 offen lds                 // 000000003514: E0511000 8001001C
	ds_read_b128 a[88:91], v37 offset:18048                    // 00000000351C: DBFE4680 58000025
	ds_read_b128 a[92:95], v37 offset:18112                    // 000000003524: DBFE46C0 5C000025
	v_mfma_f32_16x16x16_bf16 v[52:55], a[128:129], a[16:17], v[52:55]// 00000000352C: D3E10034 1CD22180
	s_add_u32 m0, 0x800, s42                                   // 000000003534: 807C2AFF 00000800
	buffer_load_dword v29, s[4:7], 0 offen lds                 // 00000000353C: E0511000 8001001D
	v_mfma_f32_16x16x16_bf16 v[52:55], a[130:131], a[18:19], v[52:55]// 000000003544: D3E10034 1CD22582
	s_add_u32 m0, 0x900, s42                                   // 00000000354C: 807C2AFF 00000900
	buffer_load_dword v30, s[4:7], 0 offen lds                 // 000000003554: E0511000 8001001E
	ds_read_b128 a[96:99], v37 offset:18560                    // 00000000355C: DBFE4880 60000025
	ds_read_b128 a[100:103], v37 offset:18624                  // 000000003564: DBFE48C0 64000025
	v_mfma_f32_16x16x16_bf16 v[52:55], a[132:133], a[20:21], v[52:55]// 00000000356C: D3E10034 1CD22984
	s_add_u32 m0, 0xa00, s42                                   // 000000003574: 807C2AFF 00000A00
	buffer_load_dword v31, s[4:7], 0 offen lds                 // 00000000357C: E0511000 8001001F
	v_mfma_f32_16x16x16_bf16 v[52:55], a[134:135], a[22:23], v[52:55]// 000000003584: D3E10034 1CD22D86
	s_add_u32 m0, 0xb00, s42                                   // 00000000358C: 807C2AFF 00000B00
	buffer_load_dword v32, s[4:7], 0 offen lds                 // 000000003594: E0511000 80010020
	ds_read_b128 a[104:107], v37 offset:19072                  // 00000000359C: DBFE4A80 68000025
	ds_read_b128 a[108:111], v37 offset:19136                  // 0000000035A4: DBFE4AC0 6C000025
	v_mfma_f32_16x16x16_bf16 v[56:59], a[128:129], a[24:25], v[56:59]// 0000000035AC: D3E10038 1CE23180
	s_add_u32 m0, 0xc00, s42                                   // 0000000035B4: 807C2AFF 00000C00
	buffer_load_dword v33, s[4:7], 0 offen lds                 // 0000000035BC: E0511000 80010021
	v_mfma_f32_16x16x16_bf16 v[56:59], a[130:131], a[26:27], v[56:59]// 0000000035C4: D3E10038 1CE23582
	s_add_u32 m0, 0xd00, s42                                   // 0000000035CC: 807C2AFF 00000D00
	buffer_load_dword v34, s[4:7], 0 offen lds                 // 0000000035D4: E0511000 80010022
	ds_read_b128 a[112:115], v37 offset:19584                  // 0000000035DC: DBFE4C80 70000025
	ds_read_b128 a[116:119], v37 offset:19648                  // 0000000035E4: DBFE4CC0 74000025
	v_mfma_f32_16x16x16_bf16 v[56:59], a[132:133], a[28:29], v[56:59]// 0000000035EC: D3E10038 1CE23984
	s_add_u32 m0, 0xe00, s42                                   // 0000000035F4: 807C2AFF 00000E00
	buffer_load_dword v35, s[4:7], 0 offen lds                 // 0000000035FC: E0511000 80010023
	v_mfma_f32_16x16x16_bf16 v[56:59], a[134:135], a[30:31], v[56:59]// 000000003604: D3E10038 1CE23D86
	s_add_u32 m0, 0xf00, s42                                   // 00000000360C: 807C2AFF 00000F00
	buffer_load_dword v36, s[4:7], 0 offen lds                 // 000000003614: E0511000 80010024
	ds_read_b128 a[120:123], v37 offset:20096                  // 00000000361C: DBFE4E80 78000025
	ds_read_b128 a[124:127], v37 offset:20160                  // 000000003624: DBFE4EC0 7C000025
	v_mfma_f32_16x16x16_bf16 v[60:63], a[128:129], a[32:33], v[60:63]// 00000000362C: D3E1003C 1CF24180
	s_add_u32 s31, 0x100, s33                                  // 000000003634: 801F21FF 00000100
	s_cmp_lt_u32 s31, s34                                      // 00000000363C: BF0A221F
	s_cselect_b32 s40, s40, 0                                  // 000000003640: 85288028
	buffer_load_dwordx4 a[144:147], v38, s[8:11], 0 offen      // 000000003644: E05C1000 80829026
	v_mfma_f32_16x16x16_bf16 v[60:63], a[130:131], a[34:35], v[60:63]// 00000000364C: D3E1003C 1CF24582
	buffer_load_dwordx4 a[148:151], v39, s[8:11], 0 offen      // 000000003654: E05C1000 80829427
	s_add_u32 s4, s40, s4                                      // 00000000365C: 80040428
	s_addc_u32 s5, 0, s5                                       // 000000003660: 82050580
	v_mfma_f32_16x16x16_bf16 v[60:63], a[132:133], a[36:37], v[60:63]// 000000003664: D3E1003C 1CF24984
	s_add_u32 s31, 0xc0, s33                                   // 00000000366C: 801F21FF 000000C0
	s_cmp_lt_u32 s31, s34                                      // 000000003674: BF0A221F
	s_cselect_b32 s41, s41, 0                                  // 000000003678: 85298029
	v_mfma_f32_16x16x16_bf16 v[60:63], a[134:135], a[38:39], v[60:63]// 00000000367C: D3E1003C 1CF24D86
	s_add_u32 s8, s41, s8                                      // 000000003684: 80080829
	s_addc_u32 s9, 0, s9                                       // 000000003688: 82090980
	v_mfma_f32_16x16x16_bf16 v[64:67], a[128:129], a[40:41], v[64:67]// 00000000368C: D3E10040 1D025180
	v_mfma_f32_16x16x16_bf16 v[64:67], a[130:131], a[42:43], v[64:67]// 000000003694: D3E10040 1D025582
	v_mfma_f32_16x16x16_bf16 v[64:67], a[132:133], a[44:45], v[64:67]// 00000000369C: D3E10040 1D025984
	v_mfma_f32_16x16x16_bf16 v[64:67], a[134:135], a[46:47], v[64:67]// 0000000036A4: D3E10040 1D025D86
	v_mfma_f32_16x16x16_bf16 v[68:71], a[128:129], a[48:49], v[68:71]// 0000000036AC: D3E10044 1D126180
	v_mfma_f32_16x16x16_bf16 v[68:71], a[130:131], a[50:51], v[68:71]// 0000000036B4: D3E10044 1D126582
	v_mfma_f32_16x16x16_bf16 v[68:71], a[132:133], a[52:53], v[68:71]// 0000000036BC: D3E10044 1D126984
	v_mfma_f32_16x16x16_bf16 v[68:71], a[134:135], a[54:55], v[68:71]// 0000000036C4: D3E10044 1D126D86
	v_mfma_f32_16x16x16_bf16 v[72:75], a[128:129], a[56:57], v[72:75]// 0000000036CC: D3E10048 1D227180
	v_mfma_f32_16x16x16_bf16 v[72:75], a[130:131], a[58:59], v[72:75]// 0000000036D4: D3E10048 1D227582
	v_mfma_f32_16x16x16_bf16 v[72:75], a[132:133], a[60:61], v[72:75]// 0000000036DC: D3E10048 1D227984
	v_mfma_f32_16x16x16_bf16 v[72:75], a[134:135], a[62:63], v[72:75]// 0000000036E4: D3E10048 1D227D86
	s_addk_i32 s33, 0x40                                       // 0000000036EC: B7210040
	s_cmp_lt_i32 s33, s34                                      // 0000000036F0: BF042221
	s_cbranch_scc0 label_0B3C                                  // 0000000036F4: BF8407BE
	s_waitcnt vmcnt(18) lgkmcnt(0)                             // 0000000036F8: BF8C4072
	s_barrier                                                  // 0000000036FC: BF8A0000
	v_mfma_f32_16x16x16_bf16 v[44:47], a[136:137], a[64:65], v[44:47]// 000000003700: D3E1002C 1CB28188
	s_add_u32 m0, 0, s43                                       // 000000003708: 807C2B80
	buffer_load_dword v21, s[4:7], 0 offen lds                 // 00000000370C: E0511000 80010015
	v_mfma_f32_16x16x16_bf16 v[44:47], a[138:139], a[66:67], v[44:47]// 000000003714: D3E1002C 1CB2858A
	s_add_u32 m0, 0x100, s43                                   // 00000000371C: 807C2BFF 00000100
	buffer_load_dword v22, s[4:7], 0 offen lds                 // 000000003724: E0511000 80010016
	ds_read_b128 a[0:3], v37 offset:33024                      // 00000000372C: DBFE8100 00000025
	ds_read_b128 a[4:7], v37 offset:33088                      // 000000003734: DBFE8140 04000025
	v_mfma_f32_16x16x16_bf16 v[44:47], a[140:141], a[68:69], v[44:47]// 00000000373C: D3E1002C 1CB2898C
	s_add_u32 m0, 0x200, s43                                   // 000000003744: 807C2BFF 00000200
	buffer_load_dword v23, s[4:7], 0 offen lds                 // 00000000374C: E0511000 80010017
	v_mfma_f32_16x16x16_bf16 v[44:47], a[142:143], a[70:71], v[44:47]// 000000003754: D3E1002C 1CB28D8E
	s_add_u32 m0, 0x300, s43                                   // 00000000375C: 807C2BFF 00000300
	buffer_load_dword v24, s[4:7], 0 offen lds                 // 000000003764: E0511000 80010018
	ds_read_b128 a[8:11], v37 offset:33536                     // 00000000376C: DBFE8300 08000025
	ds_read_b128 a[12:15], v37 offset:33600                    // 000000003774: DBFE8340 0C000025
	v_mfma_f32_16x16x16_bf16 v[48:51], a[136:137], a[72:73], v[48:51]// 00000000377C: D3E10030 1CC29188
	s_add_u32 m0, 0x400, s43                                   // 000000003784: 807C2BFF 00000400
	buffer_load_dword v25, s[4:7], 0 offen lds                 // 00000000378C: E0511000 80010019
	v_mfma_f32_16x16x16_bf16 v[48:51], a[138:139], a[74:75], v[48:51]// 000000003794: D3E10030 1CC2958A
	s_add_u32 m0, 0x500, s43                                   // 00000000379C: 807C2BFF 00000500
	buffer_load_dword v26, s[4:7], 0 offen lds                 // 0000000037A4: E0511000 8001001A
	ds_read_b128 a[16:19], v37 offset:34048                    // 0000000037AC: DBFE8500 10000025
	ds_read_b128 a[20:23], v37 offset:34112                    // 0000000037B4: DBFE8540 14000025
	v_mfma_f32_16x16x16_bf16 v[48:51], a[140:141], a[76:77], v[48:51]// 0000000037BC: D3E10030 1CC2998C
	s_add_u32 m0, 0x600, s43                                   // 0000000037C4: 807C2BFF 00000600
	buffer_load_dword v27, s[4:7], 0 offen lds                 // 0000000037CC: E0511000 8001001B
	v_mfma_f32_16x16x16_bf16 v[48:51], a[142:143], a[78:79], v[48:51]// 0000000037D4: D3E10030 1CC29D8E
	s_add_u32 m0, 0x700, s43                                   // 0000000037DC: 807C2BFF 00000700
	buffer_load_dword v28, s[4:7], 0 offen lds                 // 0000000037E4: E0511000 8001001C
	ds_read_b128 a[24:27], v37 offset:34560                    // 0000000037EC: DBFE8700 18000025
	ds_read_b128 a[28:31], v37 offset:34624                    // 0000000037F4: DBFE8740 1C000025
	v_mfma_f32_16x16x16_bf16 v[52:55], a[136:137], a[80:81], v[52:55]// 0000000037FC: D3E10034 1CD2A188
	s_add_u32 m0, 0x800, s43                                   // 000000003804: 807C2BFF 00000800
	buffer_load_dword v29, s[4:7], 0 offen lds                 // 00000000380C: E0511000 8001001D
	v_mfma_f32_16x16x16_bf16 v[52:55], a[138:139], a[82:83], v[52:55]// 000000003814: D3E10034 1CD2A58A
	s_add_u32 m0, 0x900, s43                                   // 00000000381C: 807C2BFF 00000900
	buffer_load_dword v30, s[4:7], 0 offen lds                 // 000000003824: E0511000 8001001E
	ds_read_b128 a[32:35], v37 offset:35072                    // 00000000382C: DBFE8900 20000025
	ds_read_b128 a[36:39], v37 offset:35136                    // 000000003834: DBFE8940 24000025
	v_mfma_f32_16x16x16_bf16 v[52:55], a[140:141], a[84:85], v[52:55]// 00000000383C: D3E10034 1CD2A98C
	s_add_u32 m0, 0xa00, s43                                   // 000000003844: 807C2BFF 00000A00
	buffer_load_dword v31, s[4:7], 0 offen lds                 // 00000000384C: E0511000 8001001F
	v_mfma_f32_16x16x16_bf16 v[52:55], a[142:143], a[86:87], v[52:55]// 000000003854: D3E10034 1CD2AD8E
	s_add_u32 m0, 0xb00, s43                                   // 00000000385C: 807C2BFF 00000B00
	buffer_load_dword v32, s[4:7], 0 offen lds                 // 000000003864: E0511000 80010020
	ds_read_b128 a[40:43], v37 offset:35584                    // 00000000386C: DBFE8B00 28000025
	ds_read_b128 a[44:47], v37 offset:35648                    // 000000003874: DBFE8B40 2C000025
	v_mfma_f32_16x16x16_bf16 v[56:59], a[136:137], a[88:89], v[56:59]// 00000000387C: D3E10038 1CE2B188
	s_add_u32 m0, 0xc00, s43                                   // 000000003884: 807C2BFF 00000C00
	buffer_load_dword v33, s[4:7], 0 offen lds                 // 00000000388C: E0511000 80010021
	v_mfma_f32_16x16x16_bf16 v[56:59], a[138:139], a[90:91], v[56:59]// 000000003894: D3E10038 1CE2B58A
	s_add_u32 m0, 0xd00, s43                                   // 00000000389C: 807C2BFF 00000D00
	buffer_load_dword v34, s[4:7], 0 offen lds                 // 0000000038A4: E0511000 80010022
	ds_read_b128 a[48:51], v37 offset:36096                    // 0000000038AC: DBFE8D00 30000025
	ds_read_b128 a[52:55], v37 offset:36160                    // 0000000038B4: DBFE8D40 34000025
	v_mfma_f32_16x16x16_bf16 v[56:59], a[140:141], a[92:93], v[56:59]// 0000000038BC: D3E10038 1CE2B98C
	s_add_u32 m0, 0xe00, s43                                   // 0000000038C4: 807C2BFF 00000E00
	buffer_load_dword v35, s[4:7], 0 offen lds                 // 0000000038CC: E0511000 80010023
	v_mfma_f32_16x16x16_bf16 v[56:59], a[142:143], a[94:95], v[56:59]// 0000000038D4: D3E10038 1CE2BD8E
	s_add_u32 m0, 0xf00, s43                                   // 0000000038DC: 807C2BFF 00000F00
	buffer_load_dword v36, s[4:7], 0 offen lds                 // 0000000038E4: E0511000 80010024
	ds_read_b128 a[56:59], v37 offset:36608                    // 0000000038EC: DBFE8F00 38000025
	ds_read_b128 a[60:63], v37 offset:36672                    // 0000000038F4: DBFE8F40 3C000025
	v_mfma_f32_16x16x16_bf16 v[60:63], a[136:137], a[96:97], v[60:63]// 0000000038FC: D3E1003C 1CF2C188
	s_add_u32 s31, 0x100, s33                                  // 000000003904: 801F21FF 00000100
	s_cmp_lt_u32 s31, s34                                      // 00000000390C: BF0A221F
	s_cselect_b32 s40, s40, 0                                  // 000000003910: 85288028
	buffer_load_dwordx4 a[128:131], v38, s[8:11], 0 offen      // 000000003914: E05C1000 80828026
	v_mfma_f32_16x16x16_bf16 v[60:63], a[138:139], a[98:99], v[60:63]// 00000000391C: D3E1003C 1CF2C58A
	buffer_load_dwordx4 a[132:135], v39, s[8:11], 0 offen      // 000000003924: E05C1000 80828427
	s_add_u32 s4, s40, s4                                      // 00000000392C: 80040428
	s_addc_u32 s5, 0, s5                                       // 000000003930: 82050580
	v_mfma_f32_16x16x16_bf16 v[60:63], a[140:141], a[100:101], v[60:63]// 000000003934: D3E1003C 1CF2C98C
	s_add_u32 s31, 0xc0, s33                                   // 00000000393C: 801F21FF 000000C0
	s_cmp_lt_u32 s31, s34                                      // 000000003944: BF0A221F
	s_cselect_b32 s41, s41, 0                                  // 000000003948: 85298029
	v_mfma_f32_16x16x16_bf16 v[60:63], a[142:143], a[102:103], v[60:63]// 00000000394C: D3E1003C 1CF2CD8E
	s_add_u32 s8, s41, s8                                      // 000000003954: 80080829
	s_addc_u32 s9, 0, s9                                       // 000000003958: 82090980
	v_mfma_f32_16x16x16_bf16 v[64:67], a[136:137], a[104:105], v[64:67]// 00000000395C: D3E10040 1D02D188
	v_mfma_f32_16x16x16_bf16 v[64:67], a[138:139], a[106:107], v[64:67]// 000000003964: D3E10040 1D02D58A
	v_mfma_f32_16x16x16_bf16 v[64:67], a[140:141], a[108:109], v[64:67]// 00000000396C: D3E10040 1D02D98C
	v_mfma_f32_16x16x16_bf16 v[64:67], a[142:143], a[110:111], v[64:67]// 000000003974: D3E10040 1D02DD8E
	v_mfma_f32_16x16x16_bf16 v[68:71], a[136:137], a[112:113], v[68:71]// 00000000397C: D3E10044 1D12E188
	v_mfma_f32_16x16x16_bf16 v[68:71], a[138:139], a[114:115], v[68:71]// 000000003984: D3E10044 1D12E58A
	v_mfma_f32_16x16x16_bf16 v[68:71], a[140:141], a[116:117], v[68:71]// 00000000398C: D3E10044 1D12E98C
	v_mfma_f32_16x16x16_bf16 v[68:71], a[142:143], a[118:119], v[68:71]// 000000003994: D3E10044 1D12ED8E
	v_mfma_f32_16x16x16_bf16 v[72:75], a[136:137], a[120:121], v[72:75]// 00000000399C: D3E10048 1D22F188
	v_mfma_f32_16x16x16_bf16 v[72:75], a[138:139], a[122:123], v[72:75]// 0000000039A4: D3E10048 1D22F58A
	v_mfma_f32_16x16x16_bf16 v[72:75], a[140:141], a[124:125], v[72:75]// 0000000039AC: D3E10048 1D22F98C
	v_mfma_f32_16x16x16_bf16 v[72:75], a[142:143], a[126:127], v[72:75]// 0000000039B4: D3E10048 1D22FD8E
	s_addk_i32 s33, 0x40                                       // 0000000039BC: B7210040
	s_cmp_lt_i32 s33, s34                                      // 0000000039C0: BF042221
	s_cbranch_scc0 label_0B3C                                  // 0000000039C4: BF84070A
	s_waitcnt vmcnt(18) lgkmcnt(0)                             // 0000000039C8: BF8C4072
	s_barrier                                                  // 0000000039CC: BF8A0000
	v_mfma_f32_16x16x16_bf16 v[44:47], a[144:145], a[0:1], v[44:47]// 0000000039D0: D3E1002C 1CB20190
	s_add_u32 m0, 0, s44                                       // 0000000039D8: 807C2C80
	buffer_load_dword v21, s[4:7], 0 offen lds                 // 0000000039DC: E0511000 80010015
	v_mfma_f32_16x16x16_bf16 v[44:47], a[146:147], a[2:3], v[44:47]// 0000000039E4: D3E1002C 1CB20592
	s_add_u32 m0, 0x100, s44                                   // 0000000039EC: 807C2CFF 00000100
	buffer_load_dword v22, s[4:7], 0 offen lds                 // 0000000039F4: E0511000 80010016
	ds_read_b128 a[64:67], v37                                 // 0000000039FC: DBFE0000 40000025
	ds_read_b128 a[68:71], v37 offset:64                       // 000000003A04: DBFE0040 44000025
	v_mfma_f32_16x16x16_bf16 v[44:47], a[148:149], a[4:5], v[44:47]// 000000003A0C: D3E1002C 1CB20994
	s_add_u32 m0, 0x200, s44                                   // 000000003A14: 807C2CFF 00000200
	buffer_load_dword v23, s[4:7], 0 offen lds                 // 000000003A1C: E0511000 80010017
	v_mfma_f32_16x16x16_bf16 v[44:47], a[150:151], a[6:7], v[44:47]// 000000003A24: D3E1002C 1CB20D96
	s_add_u32 m0, 0x300, s44                                   // 000000003A2C: 807C2CFF 00000300
	buffer_load_dword v24, s[4:7], 0 offen lds                 // 000000003A34: E0511000 80010018
	ds_read_b128 a[72:75], v37 offset:512                      // 000000003A3C: DBFE0200 48000025
	ds_read_b128 a[76:79], v37 offset:576                      // 000000003A44: DBFE0240 4C000025
	v_mfma_f32_16x16x16_bf16 v[48:51], a[144:145], a[8:9], v[48:51]// 000000003A4C: D3E10030 1CC21190
	s_add_u32 m0, 0x400, s44                                   // 000000003A54: 807C2CFF 00000400
	buffer_load_dword v25, s[4:7], 0 offen lds                 // 000000003A5C: E0511000 80010019
	v_mfma_f32_16x16x16_bf16 v[48:51], a[146:147], a[10:11], v[48:51]// 000000003A64: D3E10030 1CC21592
	s_add_u32 m0, 0x500, s44                                   // 000000003A6C: 807C2CFF 00000500
	buffer_load_dword v26, s[4:7], 0 offen lds                 // 000000003A74: E0511000 8001001A
	ds_read_b128 a[80:83], v37 offset:1024                     // 000000003A7C: DBFE0400 50000025
	ds_read_b128 a[84:87], v37 offset:1088                     // 000000003A84: DBFE0440 54000025
	v_mfma_f32_16x16x16_bf16 v[48:51], a[148:149], a[12:13], v[48:51]// 000000003A8C: D3E10030 1CC21994
	s_add_u32 m0, 0x600, s44                                   // 000000003A94: 807C2CFF 00000600
	buffer_load_dword v27, s[4:7], 0 offen lds                 // 000000003A9C: E0511000 8001001B
	v_mfma_f32_16x16x16_bf16 v[48:51], a[150:151], a[14:15], v[48:51]// 000000003AA4: D3E10030 1CC21D96
	s_add_u32 m0, 0x700, s44                                   // 000000003AAC: 807C2CFF 00000700
	buffer_load_dword v28, s[4:7], 0 offen lds                 // 000000003AB4: E0511000 8001001C
	ds_read_b128 a[88:91], v37 offset:1536                     // 000000003ABC: DBFE0600 58000025
	ds_read_b128 a[92:95], v37 offset:1600                     // 000000003AC4: DBFE0640 5C000025
	v_mfma_f32_16x16x16_bf16 v[52:55], a[144:145], a[16:17], v[52:55]// 000000003ACC: D3E10034 1CD22190
	s_add_u32 m0, 0x800, s44                                   // 000000003AD4: 807C2CFF 00000800
	buffer_load_dword v29, s[4:7], 0 offen lds                 // 000000003ADC: E0511000 8001001D
	v_mfma_f32_16x16x16_bf16 v[52:55], a[146:147], a[18:19], v[52:55]// 000000003AE4: D3E10034 1CD22592
	s_add_u32 m0, 0x900, s44                                   // 000000003AEC: 807C2CFF 00000900
	buffer_load_dword v30, s[4:7], 0 offen lds                 // 000000003AF4: E0511000 8001001E
	ds_read_b128 a[96:99], v37 offset:2048                     // 000000003AFC: DBFE0800 60000025
	ds_read_b128 a[100:103], v37 offset:2112                   // 000000003B04: DBFE0840 64000025
	v_mfma_f32_16x16x16_bf16 v[52:55], a[148:149], a[20:21], v[52:55]// 000000003B0C: D3E10034 1CD22994
	s_add_u32 m0, 0xa00, s44                                   // 000000003B14: 807C2CFF 00000A00
	buffer_load_dword v31, s[4:7], 0 offen lds                 // 000000003B1C: E0511000 8001001F
	v_mfma_f32_16x16x16_bf16 v[52:55], a[150:151], a[22:23], v[52:55]// 000000003B24: D3E10034 1CD22D96
	s_add_u32 m0, 0xb00, s44                                   // 000000003B2C: 807C2CFF 00000B00
	buffer_load_dword v32, s[4:7], 0 offen lds                 // 000000003B34: E0511000 80010020
	ds_read_b128 a[104:107], v37 offset:2560                   // 000000003B3C: DBFE0A00 68000025
	ds_read_b128 a[108:111], v37 offset:2624                   // 000000003B44: DBFE0A40 6C000025
	v_mfma_f32_16x16x16_bf16 v[56:59], a[144:145], a[24:25], v[56:59]// 000000003B4C: D3E10038 1CE23190
	s_add_u32 m0, 0xc00, s44                                   // 000000003B54: 807C2CFF 00000C00
	buffer_load_dword v33, s[4:7], 0 offen lds                 // 000000003B5C: E0511000 80010021
	v_mfma_f32_16x16x16_bf16 v[56:59], a[146:147], a[26:27], v[56:59]// 000000003B64: D3E10038 1CE23592
	s_add_u32 m0, 0xd00, s44                                   // 000000003B6C: 807C2CFF 00000D00
	buffer_load_dword v34, s[4:7], 0 offen lds                 // 000000003B74: E0511000 80010022
	ds_read_b128 a[112:115], v37 offset:3072                   // 000000003B7C: DBFE0C00 70000025
	ds_read_b128 a[116:119], v37 offset:3136                   // 000000003B84: DBFE0C40 74000025
	v_mfma_f32_16x16x16_bf16 v[56:59], a[148:149], a[28:29], v[56:59]// 000000003B8C: D3E10038 1CE23994
	s_add_u32 m0, 0xe00, s44                                   // 000000003B94: 807C2CFF 00000E00
	buffer_load_dword v35, s[4:7], 0 offen lds                 // 000000003B9C: E0511000 80010023
	v_mfma_f32_16x16x16_bf16 v[56:59], a[150:151], a[30:31], v[56:59]// 000000003BA4: D3E10038 1CE23D96
	s_add_u32 m0, 0xf00, s44                                   // 000000003BAC: 807C2CFF 00000F00
	buffer_load_dword v36, s[4:7], 0 offen lds                 // 000000003BB4: E0511000 80010024
	ds_read_b128 a[120:123], v37 offset:3584                   // 000000003BBC: DBFE0E00 78000025
	ds_read_b128 a[124:127], v37 offset:3648                   // 000000003BC4: DBFE0E40 7C000025
	v_mfma_f32_16x16x16_bf16 v[60:63], a[144:145], a[32:33], v[60:63]// 000000003BCC: D3E1003C 1CF24190
	s_add_u32 s31, 0x100, s33                                  // 000000003BD4: 801F21FF 00000100
	s_cmp_lt_u32 s31, s34                                      // 000000003BDC: BF0A221F
	s_cselect_b32 s40, s40, 0                                  // 000000003BE0: 85288028
	buffer_load_dwordx4 a[136:139], v38, s[8:11], 0 offen      // 000000003BE4: E05C1000 80828826
	v_mfma_f32_16x16x16_bf16 v[60:63], a[146:147], a[34:35], v[60:63]// 000000003BEC: D3E1003C 1CF24592
	buffer_load_dwordx4 a[140:143], v39, s[8:11], 0 offen      // 000000003BF4: E05C1000 80828C27
	s_add_u32 s4, s40, s4                                      // 000000003BFC: 80040428
	s_addc_u32 s5, 0, s5                                       // 000000003C00: 82050580
	v_mfma_f32_16x16x16_bf16 v[60:63], a[148:149], a[36:37], v[60:63]// 000000003C04: D3E1003C 1CF24994
	s_add_u32 s31, 0xc0, s33                                   // 000000003C0C: 801F21FF 000000C0
	s_cmp_lt_u32 s31, s34                                      // 000000003C14: BF0A221F
	s_cselect_b32 s41, s41, 0                                  // 000000003C18: 85298029
	v_mfma_f32_16x16x16_bf16 v[60:63], a[150:151], a[38:39], v[60:63]// 000000003C1C: D3E1003C 1CF24D96
	s_add_u32 s8, s41, s8                                      // 000000003C24: 80080829
	s_addc_u32 s9, 0, s9                                       // 000000003C28: 82090980
	v_mfma_f32_16x16x16_bf16 v[64:67], a[144:145], a[40:41], v[64:67]// 000000003C2C: D3E10040 1D025190
	v_mfma_f32_16x16x16_bf16 v[64:67], a[146:147], a[42:43], v[64:67]// 000000003C34: D3E10040 1D025592
	v_mfma_f32_16x16x16_bf16 v[64:67], a[148:149], a[44:45], v[64:67]// 000000003C3C: D3E10040 1D025994
	v_mfma_f32_16x16x16_bf16 v[64:67], a[150:151], a[46:47], v[64:67]// 000000003C44: D3E10040 1D025D96
	v_mfma_f32_16x16x16_bf16 v[68:71], a[144:145], a[48:49], v[68:71]// 000000003C4C: D3E10044 1D126190
	v_mfma_f32_16x16x16_bf16 v[68:71], a[146:147], a[50:51], v[68:71]// 000000003C54: D3E10044 1D126592
	v_mfma_f32_16x16x16_bf16 v[68:71], a[148:149], a[52:53], v[68:71]// 000000003C5C: D3E10044 1D126994
	v_mfma_f32_16x16x16_bf16 v[68:71], a[150:151], a[54:55], v[68:71]// 000000003C64: D3E10044 1D126D96
	v_mfma_f32_16x16x16_bf16 v[72:75], a[144:145], a[56:57], v[72:75]// 000000003C6C: D3E10048 1D227190
	v_mfma_f32_16x16x16_bf16 v[72:75], a[146:147], a[58:59], v[72:75]// 000000003C74: D3E10048 1D227592
	v_mfma_f32_16x16x16_bf16 v[72:75], a[148:149], a[60:61], v[72:75]// 000000003C7C: D3E10048 1D227994
	v_mfma_f32_16x16x16_bf16 v[72:75], a[150:151], a[62:63], v[72:75]// 000000003C84: D3E10048 1D227D96
	s_addk_i32 s33, 0x40                                       // 000000003C8C: B7210040
	s_cmp_lt_i32 s33, s34                                      // 000000003C90: BF042221
	s_cbranch_scc0 label_0B3C                                  // 000000003C94: BF840656
	s_waitcnt vmcnt(18) lgkmcnt(0)                             // 000000003C98: BF8C4072
	s_barrier                                                  // 000000003C9C: BF8A0000
	v_mfma_f32_16x16x16_bf16 v[44:47], a[128:129], a[64:65], v[44:47]// 000000003CA0: D3E1002C 1CB28180
	s_add_u32 m0, 0, s42                                       // 000000003CA8: 807C2A80
	buffer_load_dword v21, s[4:7], 0 offen lds                 // 000000003CAC: E0511000 80010015
	v_mfma_f32_16x16x16_bf16 v[44:47], a[130:131], a[66:67], v[44:47]// 000000003CB4: D3E1002C 1CB28582
	s_add_u32 m0, 0x100, s42                                   // 000000003CBC: 807C2AFF 00000100
	buffer_load_dword v22, s[4:7], 0 offen lds                 // 000000003CC4: E0511000 80010016
	ds_read_b128 a[0:3], v37 offset:16512                      // 000000003CCC: DBFE4080 00000025
	ds_read_b128 a[4:7], v37 offset:16576                      // 000000003CD4: DBFE40C0 04000025
	v_mfma_f32_16x16x16_bf16 v[44:47], a[132:133], a[68:69], v[44:47]// 000000003CDC: D3E1002C 1CB28984
	s_add_u32 m0, 0x200, s42                                   // 000000003CE4: 807C2AFF 00000200
	buffer_load_dword v23, s[4:7], 0 offen lds                 // 000000003CEC: E0511000 80010017
	v_mfma_f32_16x16x16_bf16 v[44:47], a[134:135], a[70:71], v[44:47]// 000000003CF4: D3E1002C 1CB28D86
	s_add_u32 m0, 0x300, s42                                   // 000000003CFC: 807C2AFF 00000300
	buffer_load_dword v24, s[4:7], 0 offen lds                 // 000000003D04: E0511000 80010018
	ds_read_b128 a[8:11], v37 offset:17024                     // 000000003D0C: DBFE4280 08000025
	ds_read_b128 a[12:15], v37 offset:17088                    // 000000003D14: DBFE42C0 0C000025
	v_mfma_f32_16x16x16_bf16 v[48:51], a[128:129], a[72:73], v[48:51]// 000000003D1C: D3E10030 1CC29180
	s_add_u32 m0, 0x400, s42                                   // 000000003D24: 807C2AFF 00000400
	buffer_load_dword v25, s[4:7], 0 offen lds                 // 000000003D2C: E0511000 80010019
	v_mfma_f32_16x16x16_bf16 v[48:51], a[130:131], a[74:75], v[48:51]// 000000003D34: D3E10030 1CC29582
	s_add_u32 m0, 0x500, s42                                   // 000000003D3C: 807C2AFF 00000500
	buffer_load_dword v26, s[4:7], 0 offen lds                 // 000000003D44: E0511000 8001001A
	ds_read_b128 a[16:19], v37 offset:17536                    // 000000003D4C: DBFE4480 10000025
	ds_read_b128 a[20:23], v37 offset:17600                    // 000000003D54: DBFE44C0 14000025
	v_mfma_f32_16x16x16_bf16 v[48:51], a[132:133], a[76:77], v[48:51]// 000000003D5C: D3E10030 1CC29984
	s_add_u32 m0, 0x600, s42                                   // 000000003D64: 807C2AFF 00000600
	buffer_load_dword v27, s[4:7], 0 offen lds                 // 000000003D6C: E0511000 8001001B
	v_mfma_f32_16x16x16_bf16 v[48:51], a[134:135], a[78:79], v[48:51]// 000000003D74: D3E10030 1CC29D86
	s_add_u32 m0, 0x700, s42                                   // 000000003D7C: 807C2AFF 00000700
	buffer_load_dword v28, s[4:7], 0 offen lds                 // 000000003D84: E0511000 8001001C
	ds_read_b128 a[24:27], v37 offset:18048                    // 000000003D8C: DBFE4680 18000025
	ds_read_b128 a[28:31], v37 offset:18112                    // 000000003D94: DBFE46C0 1C000025
	v_mfma_f32_16x16x16_bf16 v[52:55], a[128:129], a[80:81], v[52:55]// 000000003D9C: D3E10034 1CD2A180
	s_add_u32 m0, 0x800, s42                                   // 000000003DA4: 807C2AFF 00000800
	buffer_load_dword v29, s[4:7], 0 offen lds                 // 000000003DAC: E0511000 8001001D
	v_mfma_f32_16x16x16_bf16 v[52:55], a[130:131], a[82:83], v[52:55]// 000000003DB4: D3E10034 1CD2A582
	s_add_u32 m0, 0x900, s42                                   // 000000003DBC: 807C2AFF 00000900
	buffer_load_dword v30, s[4:7], 0 offen lds                 // 000000003DC4: E0511000 8001001E
	ds_read_b128 a[32:35], v37 offset:18560                    // 000000003DCC: DBFE4880 20000025
	ds_read_b128 a[36:39], v37 offset:18624                    // 000000003DD4: DBFE48C0 24000025
	v_mfma_f32_16x16x16_bf16 v[52:55], a[132:133], a[84:85], v[52:55]// 000000003DDC: D3E10034 1CD2A984
	s_add_u32 m0, 0xa00, s42                                   // 000000003DE4: 807C2AFF 00000A00
	buffer_load_dword v31, s[4:7], 0 offen lds                 // 000000003DEC: E0511000 8001001F
	v_mfma_f32_16x16x16_bf16 v[52:55], a[134:135], a[86:87], v[52:55]// 000000003DF4: D3E10034 1CD2AD86
	s_add_u32 m0, 0xb00, s42                                   // 000000003DFC: 807C2AFF 00000B00
	buffer_load_dword v32, s[4:7], 0 offen lds                 // 000000003E04: E0511000 80010020
	ds_read_b128 a[40:43], v37 offset:19072                    // 000000003E0C: DBFE4A80 28000025
	ds_read_b128 a[44:47], v37 offset:19136                    // 000000003E14: DBFE4AC0 2C000025
	v_mfma_f32_16x16x16_bf16 v[56:59], a[128:129], a[88:89], v[56:59]// 000000003E1C: D3E10038 1CE2B180
	s_add_u32 m0, 0xc00, s42                                   // 000000003E24: 807C2AFF 00000C00
	buffer_load_dword v33, s[4:7], 0 offen lds                 // 000000003E2C: E0511000 80010021
	v_mfma_f32_16x16x16_bf16 v[56:59], a[130:131], a[90:91], v[56:59]// 000000003E34: D3E10038 1CE2B582
	s_add_u32 m0, 0xd00, s42                                   // 000000003E3C: 807C2AFF 00000D00
	buffer_load_dword v34, s[4:7], 0 offen lds                 // 000000003E44: E0511000 80010022
	ds_read_b128 a[48:51], v37 offset:19584                    // 000000003E4C: DBFE4C80 30000025
	ds_read_b128 a[52:55], v37 offset:19648                    // 000000003E54: DBFE4CC0 34000025
	v_mfma_f32_16x16x16_bf16 v[56:59], a[132:133], a[92:93], v[56:59]// 000000003E5C: D3E10038 1CE2B984
	s_add_u32 m0, 0xe00, s42                                   // 000000003E64: 807C2AFF 00000E00
	buffer_load_dword v35, s[4:7], 0 offen lds                 // 000000003E6C: E0511000 80010023
	v_mfma_f32_16x16x16_bf16 v[56:59], a[134:135], a[94:95], v[56:59]// 000000003E74: D3E10038 1CE2BD86
	s_add_u32 m0, 0xf00, s42                                   // 000000003E7C: 807C2AFF 00000F00
	buffer_load_dword v36, s[4:7], 0 offen lds                 // 000000003E84: E0511000 80010024
	ds_read_b128 a[56:59], v37 offset:20096                    // 000000003E8C: DBFE4E80 38000025
	ds_read_b128 a[60:63], v37 offset:20160                    // 000000003E94: DBFE4EC0 3C000025
	v_mfma_f32_16x16x16_bf16 v[60:63], a[128:129], a[96:97], v[60:63]// 000000003E9C: D3E1003C 1CF2C180
	s_add_u32 s31, 0x100, s33                                  // 000000003EA4: 801F21FF 00000100
	s_cmp_lt_u32 s31, s34                                      // 000000003EAC: BF0A221F
	s_cselect_b32 s40, s40, 0                                  // 000000003EB0: 85288028
	buffer_load_dwordx4 a[144:147], v38, s[8:11], 0 offen      // 000000003EB4: E05C1000 80829026
	v_mfma_f32_16x16x16_bf16 v[60:63], a[130:131], a[98:99], v[60:63]// 000000003EBC: D3E1003C 1CF2C582
	buffer_load_dwordx4 a[148:151], v39, s[8:11], 0 offen      // 000000003EC4: E05C1000 80829427
	s_add_u32 s4, s40, s4                                      // 000000003ECC: 80040428
	s_addc_u32 s5, 0, s5                                       // 000000003ED0: 82050580
	v_mfma_f32_16x16x16_bf16 v[60:63], a[132:133], a[100:101], v[60:63]// 000000003ED4: D3E1003C 1CF2C984
	s_add_u32 s31, 0xc0, s33                                   // 000000003EDC: 801F21FF 000000C0
	s_cmp_lt_u32 s31, s34                                      // 000000003EE4: BF0A221F
	s_cselect_b32 s41, s41, 0                                  // 000000003EE8: 85298029
	v_mfma_f32_16x16x16_bf16 v[60:63], a[134:135], a[102:103], v[60:63]// 000000003EEC: D3E1003C 1CF2CD86
	s_add_u32 s8, s41, s8                                      // 000000003EF4: 80080829
	s_addc_u32 s9, 0, s9                                       // 000000003EF8: 82090980
	v_mfma_f32_16x16x16_bf16 v[64:67], a[128:129], a[104:105], v[64:67]// 000000003EFC: D3E10040 1D02D180
	v_mfma_f32_16x16x16_bf16 v[64:67], a[130:131], a[106:107], v[64:67]// 000000003F04: D3E10040 1D02D582
	v_mfma_f32_16x16x16_bf16 v[64:67], a[132:133], a[108:109], v[64:67]// 000000003F0C: D3E10040 1D02D984
	v_mfma_f32_16x16x16_bf16 v[64:67], a[134:135], a[110:111], v[64:67]// 000000003F14: D3E10040 1D02DD86
	v_mfma_f32_16x16x16_bf16 v[68:71], a[128:129], a[112:113], v[68:71]// 000000003F1C: D3E10044 1D12E180
	v_mfma_f32_16x16x16_bf16 v[68:71], a[130:131], a[114:115], v[68:71]// 000000003F24: D3E10044 1D12E582
	v_mfma_f32_16x16x16_bf16 v[68:71], a[132:133], a[116:117], v[68:71]// 000000003F2C: D3E10044 1D12E984
	v_mfma_f32_16x16x16_bf16 v[68:71], a[134:135], a[118:119], v[68:71]// 000000003F34: D3E10044 1D12ED86
	v_mfma_f32_16x16x16_bf16 v[72:75], a[128:129], a[120:121], v[72:75]// 000000003F3C: D3E10048 1D22F180
	v_mfma_f32_16x16x16_bf16 v[72:75], a[130:131], a[122:123], v[72:75]// 000000003F44: D3E10048 1D22F582
	v_mfma_f32_16x16x16_bf16 v[72:75], a[132:133], a[124:125], v[72:75]// 000000003F4C: D3E10048 1D22F984
	v_mfma_f32_16x16x16_bf16 v[72:75], a[134:135], a[126:127], v[72:75]// 000000003F54: D3E10048 1D22FD86
	s_addk_i32 s33, 0x40                                       // 000000003F5C: B7210040
	s_cmp_lt_i32 s33, s34                                      // 000000003F60: BF042221
	s_cbranch_scc0 label_0B3C                                  // 000000003F64: BF8405A2
	s_waitcnt vmcnt(18) lgkmcnt(0)                             // 000000003F68: BF8C4072
	s_barrier                                                  // 000000003F6C: BF8A0000
	v_mfma_f32_16x16x16_bf16 v[44:47], a[136:137], a[0:1], v[44:47]// 000000003F70: D3E1002C 1CB20188
	s_add_u32 m0, 0, s43                                       // 000000003F78: 807C2B80
	buffer_load_dword v21, s[4:7], 0 offen lds                 // 000000003F7C: E0511000 80010015
	v_mfma_f32_16x16x16_bf16 v[44:47], a[138:139], a[2:3], v[44:47]// 000000003F84: D3E1002C 1CB2058A
	s_add_u32 m0, 0x100, s43                                   // 000000003F8C: 807C2BFF 00000100
	buffer_load_dword v22, s[4:7], 0 offen lds                 // 000000003F94: E0511000 80010016
	ds_read_b128 a[64:67], v37 offset:33024                    // 000000003F9C: DBFE8100 40000025
	ds_read_b128 a[68:71], v37 offset:33088                    // 000000003FA4: DBFE8140 44000025
	v_mfma_f32_16x16x16_bf16 v[44:47], a[140:141], a[4:5], v[44:47]// 000000003FAC: D3E1002C 1CB2098C
	s_add_u32 m0, 0x200, s43                                   // 000000003FB4: 807C2BFF 00000200
	buffer_load_dword v23, s[4:7], 0 offen lds                 // 000000003FBC: E0511000 80010017
	v_mfma_f32_16x16x16_bf16 v[44:47], a[142:143], a[6:7], v[44:47]// 000000003FC4: D3E1002C 1CB20D8E
	s_add_u32 m0, 0x300, s43                                   // 000000003FCC: 807C2BFF 00000300
	buffer_load_dword v24, s[4:7], 0 offen lds                 // 000000003FD4: E0511000 80010018
	ds_read_b128 a[72:75], v37 offset:33536                    // 000000003FDC: DBFE8300 48000025
	ds_read_b128 a[76:79], v37 offset:33600                    // 000000003FE4: DBFE8340 4C000025
	v_mfma_f32_16x16x16_bf16 v[48:51], a[136:137], a[8:9], v[48:51]// 000000003FEC: D3E10030 1CC21188
	s_add_u32 m0, 0x400, s43                                   // 000000003FF4: 807C2BFF 00000400
	buffer_load_dword v25, s[4:7], 0 offen lds                 // 000000003FFC: E0511000 80010019
	v_mfma_f32_16x16x16_bf16 v[48:51], a[138:139], a[10:11], v[48:51]// 000000004004: D3E10030 1CC2158A
	s_add_u32 m0, 0x500, s43                                   // 00000000400C: 807C2BFF 00000500
	buffer_load_dword v26, s[4:7], 0 offen lds                 // 000000004014: E0511000 8001001A
	ds_read_b128 a[80:83], v37 offset:34048                    // 00000000401C: DBFE8500 50000025
	ds_read_b128 a[84:87], v37 offset:34112                    // 000000004024: DBFE8540 54000025
	v_mfma_f32_16x16x16_bf16 v[48:51], a[140:141], a[12:13], v[48:51]// 00000000402C: D3E10030 1CC2198C
	s_add_u32 m0, 0x600, s43                                   // 000000004034: 807C2BFF 00000600
	buffer_load_dword v27, s[4:7], 0 offen lds                 // 00000000403C: E0511000 8001001B
	v_mfma_f32_16x16x16_bf16 v[48:51], a[142:143], a[14:15], v[48:51]// 000000004044: D3E10030 1CC21D8E
	s_add_u32 m0, 0x700, s43                                   // 00000000404C: 807C2BFF 00000700
	buffer_load_dword v28, s[4:7], 0 offen lds                 // 000000004054: E0511000 8001001C
	ds_read_b128 a[88:91], v37 offset:34560                    // 00000000405C: DBFE8700 58000025
	ds_read_b128 a[92:95], v37 offset:34624                    // 000000004064: DBFE8740 5C000025
	v_mfma_f32_16x16x16_bf16 v[52:55], a[136:137], a[16:17], v[52:55]// 00000000406C: D3E10034 1CD22188
	s_add_u32 m0, 0x800, s43                                   // 000000004074: 807C2BFF 00000800
	buffer_load_dword v29, s[4:7], 0 offen lds                 // 00000000407C: E0511000 8001001D
	v_mfma_f32_16x16x16_bf16 v[52:55], a[138:139], a[18:19], v[52:55]// 000000004084: D3E10034 1CD2258A
	s_add_u32 m0, 0x900, s43                                   // 00000000408C: 807C2BFF 00000900
	buffer_load_dword v30, s[4:7], 0 offen lds                 // 000000004094: E0511000 8001001E
	ds_read_b128 a[96:99], v37 offset:35072                    // 00000000409C: DBFE8900 60000025
	ds_read_b128 a[100:103], v37 offset:35136                  // 0000000040A4: DBFE8940 64000025
	v_mfma_f32_16x16x16_bf16 v[52:55], a[140:141], a[20:21], v[52:55]// 0000000040AC: D3E10034 1CD2298C
	s_add_u32 m0, 0xa00, s43                                   // 0000000040B4: 807C2BFF 00000A00
	buffer_load_dword v31, s[4:7], 0 offen lds                 // 0000000040BC: E0511000 8001001F
	v_mfma_f32_16x16x16_bf16 v[52:55], a[142:143], a[22:23], v[52:55]// 0000000040C4: D3E10034 1CD22D8E
	s_add_u32 m0, 0xb00, s43                                   // 0000000040CC: 807C2BFF 00000B00
	buffer_load_dword v32, s[4:7], 0 offen lds                 // 0000000040D4: E0511000 80010020
	ds_read_b128 a[104:107], v37 offset:35584                  // 0000000040DC: DBFE8B00 68000025
	ds_read_b128 a[108:111], v37 offset:35648                  // 0000000040E4: DBFE8B40 6C000025
	v_mfma_f32_16x16x16_bf16 v[56:59], a[136:137], a[24:25], v[56:59]// 0000000040EC: D3E10038 1CE23188
	s_add_u32 m0, 0xc00, s43                                   // 0000000040F4: 807C2BFF 00000C00
	buffer_load_dword v33, s[4:7], 0 offen lds                 // 0000000040FC: E0511000 80010021
	v_mfma_f32_16x16x16_bf16 v[56:59], a[138:139], a[26:27], v[56:59]// 000000004104: D3E10038 1CE2358A
	s_add_u32 m0, 0xd00, s43                                   // 00000000410C: 807C2BFF 00000D00
	buffer_load_dword v34, s[4:7], 0 offen lds                 // 000000004114: E0511000 80010022
	ds_read_b128 a[112:115], v37 offset:36096                  // 00000000411C: DBFE8D00 70000025
	ds_read_b128 a[116:119], v37 offset:36160                  // 000000004124: DBFE8D40 74000025
	v_mfma_f32_16x16x16_bf16 v[56:59], a[140:141], a[28:29], v[56:59]// 00000000412C: D3E10038 1CE2398C
	s_add_u32 m0, 0xe00, s43                                   // 000000004134: 807C2BFF 00000E00
	buffer_load_dword v35, s[4:7], 0 offen lds                 // 00000000413C: E0511000 80010023
	v_mfma_f32_16x16x16_bf16 v[56:59], a[142:143], a[30:31], v[56:59]// 000000004144: D3E10038 1CE23D8E
	s_add_u32 m0, 0xf00, s43                                   // 00000000414C: 807C2BFF 00000F00
	buffer_load_dword v36, s[4:7], 0 offen lds                 // 000000004154: E0511000 80010024
	ds_read_b128 a[120:123], v37 offset:36608                  // 00000000415C: DBFE8F00 78000025
	ds_read_b128 a[124:127], v37 offset:36672                  // 000000004164: DBFE8F40 7C000025
	v_mfma_f32_16x16x16_bf16 v[60:63], a[136:137], a[32:33], v[60:63]// 00000000416C: D3E1003C 1CF24188
	s_add_u32 s31, 0x100, s33                                  // 000000004174: 801F21FF 00000100
	s_cmp_lt_u32 s31, s34                                      // 00000000417C: BF0A221F
	s_cselect_b32 s40, s40, 0                                  // 000000004180: 85288028
	buffer_load_dwordx4 a[128:131], v38, s[8:11], 0 offen      // 000000004184: E05C1000 80828026
	v_mfma_f32_16x16x16_bf16 v[60:63], a[138:139], a[34:35], v[60:63]// 00000000418C: D3E1003C 1CF2458A
	buffer_load_dwordx4 a[132:135], v39, s[8:11], 0 offen      // 000000004194: E05C1000 80828427
	s_add_u32 s4, s40, s4                                      // 00000000419C: 80040428
	s_addc_u32 s5, 0, s5                                       // 0000000041A0: 82050580
	v_mfma_f32_16x16x16_bf16 v[60:63], a[140:141], a[36:37], v[60:63]// 0000000041A4: D3E1003C 1CF2498C
	s_add_u32 s31, 0xc0, s33                                   // 0000000041AC: 801F21FF 000000C0
	s_cmp_lt_u32 s31, s34                                      // 0000000041B4: BF0A221F
	s_cselect_b32 s41, s41, 0                                  // 0000000041B8: 85298029
	v_mfma_f32_16x16x16_bf16 v[60:63], a[142:143], a[38:39], v[60:63]// 0000000041BC: D3E1003C 1CF24D8E
	s_add_u32 s8, s41, s8                                      // 0000000041C4: 80080829
	s_addc_u32 s9, 0, s9                                       // 0000000041C8: 82090980
	v_mfma_f32_16x16x16_bf16 v[64:67], a[136:137], a[40:41], v[64:67]// 0000000041CC: D3E10040 1D025188
	v_mfma_f32_16x16x16_bf16 v[64:67], a[138:139], a[42:43], v[64:67]// 0000000041D4: D3E10040 1D02558A
	v_mfma_f32_16x16x16_bf16 v[64:67], a[140:141], a[44:45], v[64:67]// 0000000041DC: D3E10040 1D02598C
	v_mfma_f32_16x16x16_bf16 v[64:67], a[142:143], a[46:47], v[64:67]// 0000000041E4: D3E10040 1D025D8E
	v_mfma_f32_16x16x16_bf16 v[68:71], a[136:137], a[48:49], v[68:71]// 0000000041EC: D3E10044 1D126188
	v_mfma_f32_16x16x16_bf16 v[68:71], a[138:139], a[50:51], v[68:71]// 0000000041F4: D3E10044 1D12658A
	v_mfma_f32_16x16x16_bf16 v[68:71], a[140:141], a[52:53], v[68:71]// 0000000041FC: D3E10044 1D12698C
	v_mfma_f32_16x16x16_bf16 v[68:71], a[142:143], a[54:55], v[68:71]// 000000004204: D3E10044 1D126D8E
	v_mfma_f32_16x16x16_bf16 v[72:75], a[136:137], a[56:57], v[72:75]// 00000000420C: D3E10048 1D227188
	v_mfma_f32_16x16x16_bf16 v[72:75], a[138:139], a[58:59], v[72:75]// 000000004214: D3E10048 1D22758A
	v_mfma_f32_16x16x16_bf16 v[72:75], a[140:141], a[60:61], v[72:75]// 00000000421C: D3E10048 1D22798C
	v_mfma_f32_16x16x16_bf16 v[72:75], a[142:143], a[62:63], v[72:75]// 000000004224: D3E10048 1D227D8E
	s_addk_i32 s33, 0x40                                       // 00000000422C: B7210040
	s_cmp_lt_i32 s33, s34                                      // 000000004230: BF042221
	s_cbranch_scc0 label_0B3C                                  // 000000004234: BF8404EE
	s_waitcnt vmcnt(18) lgkmcnt(0)                             // 000000004238: BF8C4072
	s_barrier                                                  // 00000000423C: BF8A0000
	v_mfma_f32_16x16x16_bf16 v[44:47], a[144:145], a[64:65], v[44:47]// 000000004240: D3E1002C 1CB28190
	s_add_u32 m0, 0, s44                                       // 000000004248: 807C2C80
	buffer_load_dword v21, s[4:7], 0 offen lds                 // 00000000424C: E0511000 80010015
	v_mfma_f32_16x16x16_bf16 v[44:47], a[146:147], a[66:67], v[44:47]// 000000004254: D3E1002C 1CB28592
	s_add_u32 m0, 0x100, s44                                   // 00000000425C: 807C2CFF 00000100
	buffer_load_dword v22, s[4:7], 0 offen lds                 // 000000004264: E0511000 80010016
	ds_read_b128 a[0:3], v37                                   // 00000000426C: DBFE0000 00000025
	ds_read_b128 a[4:7], v37 offset:64                         // 000000004274: DBFE0040 04000025
	v_mfma_f32_16x16x16_bf16 v[44:47], a[148:149], a[68:69], v[44:47]// 00000000427C: D3E1002C 1CB28994
	s_add_u32 m0, 0x200, s44                                   // 000000004284: 807C2CFF 00000200
	buffer_load_dword v23, s[4:7], 0 offen lds                 // 00000000428C: E0511000 80010017
	v_mfma_f32_16x16x16_bf16 v[44:47], a[150:151], a[70:71], v[44:47]// 000000004294: D3E1002C 1CB28D96
	s_add_u32 m0, 0x300, s44                                   // 00000000429C: 807C2CFF 00000300
	buffer_load_dword v24, s[4:7], 0 offen lds                 // 0000000042A4: E0511000 80010018
	ds_read_b128 a[8:11], v37 offset:512                       // 0000000042AC: DBFE0200 08000025
	ds_read_b128 a[12:15], v37 offset:576                      // 0000000042B4: DBFE0240 0C000025
	v_mfma_f32_16x16x16_bf16 v[48:51], a[144:145], a[72:73], v[48:51]// 0000000042BC: D3E10030 1CC29190
	s_add_u32 m0, 0x400, s44                                   // 0000000042C4: 807C2CFF 00000400
	buffer_load_dword v25, s[4:7], 0 offen lds                 // 0000000042CC: E0511000 80010019
	v_mfma_f32_16x16x16_bf16 v[48:51], a[146:147], a[74:75], v[48:51]// 0000000042D4: D3E10030 1CC29592
	s_add_u32 m0, 0x500, s44                                   // 0000000042DC: 807C2CFF 00000500
	buffer_load_dword v26, s[4:7], 0 offen lds                 // 0000000042E4: E0511000 8001001A
	ds_read_b128 a[16:19], v37 offset:1024                     // 0000000042EC: DBFE0400 10000025
	ds_read_b128 a[20:23], v37 offset:1088                     // 0000000042F4: DBFE0440 14000025
	v_mfma_f32_16x16x16_bf16 v[48:51], a[148:149], a[76:77], v[48:51]// 0000000042FC: D3E10030 1CC29994
	s_add_u32 m0, 0x600, s44                                   // 000000004304: 807C2CFF 00000600
	buffer_load_dword v27, s[4:7], 0 offen lds                 // 00000000430C: E0511000 8001001B
	v_mfma_f32_16x16x16_bf16 v[48:51], a[150:151], a[78:79], v[48:51]// 000000004314: D3E10030 1CC29D96
	s_add_u32 m0, 0x700, s44                                   // 00000000431C: 807C2CFF 00000700
	buffer_load_dword v28, s[4:7], 0 offen lds                 // 000000004324: E0511000 8001001C
	ds_read_b128 a[24:27], v37 offset:1536                     // 00000000432C: DBFE0600 18000025
	ds_read_b128 a[28:31], v37 offset:1600                     // 000000004334: DBFE0640 1C000025
	v_mfma_f32_16x16x16_bf16 v[52:55], a[144:145], a[80:81], v[52:55]// 00000000433C: D3E10034 1CD2A190
	s_add_u32 m0, 0x800, s44                                   // 000000004344: 807C2CFF 00000800
	buffer_load_dword v29, s[4:7], 0 offen lds                 // 00000000434C: E0511000 8001001D
	v_mfma_f32_16x16x16_bf16 v[52:55], a[146:147], a[82:83], v[52:55]// 000000004354: D3E10034 1CD2A592
	s_add_u32 m0, 0x900, s44                                   // 00000000435C: 807C2CFF 00000900
	buffer_load_dword v30, s[4:7], 0 offen lds                 // 000000004364: E0511000 8001001E
	ds_read_b128 a[32:35], v37 offset:2048                     // 00000000436C: DBFE0800 20000025
	ds_read_b128 a[36:39], v37 offset:2112                     // 000000004374: DBFE0840 24000025
	v_mfma_f32_16x16x16_bf16 v[52:55], a[148:149], a[84:85], v[52:55]// 00000000437C: D3E10034 1CD2A994
	s_add_u32 m0, 0xa00, s44                                   // 000000004384: 807C2CFF 00000A00
	buffer_load_dword v31, s[4:7], 0 offen lds                 // 00000000438C: E0511000 8001001F
	v_mfma_f32_16x16x16_bf16 v[52:55], a[150:151], a[86:87], v[52:55]// 000000004394: D3E10034 1CD2AD96
	s_add_u32 m0, 0xb00, s44                                   // 00000000439C: 807C2CFF 00000B00
	buffer_load_dword v32, s[4:7], 0 offen lds                 // 0000000043A4: E0511000 80010020
	ds_read_b128 a[40:43], v37 offset:2560                     // 0000000043AC: DBFE0A00 28000025
	ds_read_b128 a[44:47], v37 offset:2624                     // 0000000043B4: DBFE0A40 2C000025
	v_mfma_f32_16x16x16_bf16 v[56:59], a[144:145], a[88:89], v[56:59]// 0000000043BC: D3E10038 1CE2B190
	s_add_u32 m0, 0xc00, s44                                   // 0000000043C4: 807C2CFF 00000C00
	buffer_load_dword v33, s[4:7], 0 offen lds                 // 0000000043CC: E0511000 80010021
	v_mfma_f32_16x16x16_bf16 v[56:59], a[146:147], a[90:91], v[56:59]// 0000000043D4: D3E10038 1CE2B592
	s_add_u32 m0, 0xd00, s44                                   // 0000000043DC: 807C2CFF 00000D00
	buffer_load_dword v34, s[4:7], 0 offen lds                 // 0000000043E4: E0511000 80010022
	ds_read_b128 a[48:51], v37 offset:3072                     // 0000000043EC: DBFE0C00 30000025
	ds_read_b128 a[52:55], v37 offset:3136                     // 0000000043F4: DBFE0C40 34000025
	v_mfma_f32_16x16x16_bf16 v[56:59], a[148:149], a[92:93], v[56:59]// 0000000043FC: D3E10038 1CE2B994
	s_add_u32 m0, 0xe00, s44                                   // 000000004404: 807C2CFF 00000E00
	buffer_load_dword v35, s[4:7], 0 offen lds                 // 00000000440C: E0511000 80010023
	v_mfma_f32_16x16x16_bf16 v[56:59], a[150:151], a[94:95], v[56:59]// 000000004414: D3E10038 1CE2BD96
	s_add_u32 m0, 0xf00, s44                                   // 00000000441C: 807C2CFF 00000F00
	buffer_load_dword v36, s[4:7], 0 offen lds                 // 000000004424: E0511000 80010024
	ds_read_b128 a[56:59], v37 offset:3584                     // 00000000442C: DBFE0E00 38000025
	ds_read_b128 a[60:63], v37 offset:3648                     // 000000004434: DBFE0E40 3C000025
	v_mfma_f32_16x16x16_bf16 v[60:63], a[144:145], a[96:97], v[60:63]// 00000000443C: D3E1003C 1CF2C190
	s_add_u32 s31, 0x100, s33                                  // 000000004444: 801F21FF 00000100
	s_cmp_lt_u32 s31, s34                                      // 00000000444C: BF0A221F
	s_cselect_b32 s40, s40, 0                                  // 000000004450: 85288028
	buffer_load_dwordx4 a[136:139], v38, s[8:11], 0 offen      // 000000004454: E05C1000 80828826
	v_mfma_f32_16x16x16_bf16 v[60:63], a[146:147], a[98:99], v[60:63]// 00000000445C: D3E1003C 1CF2C592
	buffer_load_dwordx4 a[140:143], v39, s[8:11], 0 offen      // 000000004464: E05C1000 80828C27
	s_add_u32 s4, s40, s4                                      // 00000000446C: 80040428
	s_addc_u32 s5, 0, s5                                       // 000000004470: 82050580
	v_mfma_f32_16x16x16_bf16 v[60:63], a[148:149], a[100:101], v[60:63]// 000000004474: D3E1003C 1CF2C994
	s_add_u32 s31, 0xc0, s33                                   // 00000000447C: 801F21FF 000000C0
	s_cmp_lt_u32 s31, s34                                      // 000000004484: BF0A221F
	s_cselect_b32 s41, s41, 0                                  // 000000004488: 85298029
	v_mfma_f32_16x16x16_bf16 v[60:63], a[150:151], a[102:103], v[60:63]// 00000000448C: D3E1003C 1CF2CD96
	s_add_u32 s8, s41, s8                                      // 000000004494: 80080829
	s_addc_u32 s9, 0, s9                                       // 000000004498: 82090980
	v_mfma_f32_16x16x16_bf16 v[64:67], a[144:145], a[104:105], v[64:67]// 00000000449C: D3E10040 1D02D190
	v_mfma_f32_16x16x16_bf16 v[64:67], a[146:147], a[106:107], v[64:67]// 0000000044A4: D3E10040 1D02D592
	v_mfma_f32_16x16x16_bf16 v[64:67], a[148:149], a[108:109], v[64:67]// 0000000044AC: D3E10040 1D02D994
	v_mfma_f32_16x16x16_bf16 v[64:67], a[150:151], a[110:111], v[64:67]// 0000000044B4: D3E10040 1D02DD96
	v_mfma_f32_16x16x16_bf16 v[68:71], a[144:145], a[112:113], v[68:71]// 0000000044BC: D3E10044 1D12E190
	v_mfma_f32_16x16x16_bf16 v[68:71], a[146:147], a[114:115], v[68:71]// 0000000044C4: D3E10044 1D12E592
	v_mfma_f32_16x16x16_bf16 v[68:71], a[148:149], a[116:117], v[68:71]// 0000000044CC: D3E10044 1D12E994
	v_mfma_f32_16x16x16_bf16 v[68:71], a[150:151], a[118:119], v[68:71]// 0000000044D4: D3E10044 1D12ED96
	v_mfma_f32_16x16x16_bf16 v[72:75], a[144:145], a[120:121], v[72:75]// 0000000044DC: D3E10048 1D22F190
	v_mfma_f32_16x16x16_bf16 v[72:75], a[146:147], a[122:123], v[72:75]// 0000000044E4: D3E10048 1D22F592
	v_mfma_f32_16x16x16_bf16 v[72:75], a[148:149], a[124:125], v[72:75]// 0000000044EC: D3E10048 1D22F994
	v_mfma_f32_16x16x16_bf16 v[72:75], a[150:151], a[126:127], v[72:75]// 0000000044F4: D3E10048 1D22FD96
	s_addk_i32 s33, 0x40                                       // 0000000044FC: B7210040
	s_cmp_lt_i32 s33, s34                                      // 000000004500: BF042221
	s_cbranch_scc0 label_0B3C                                  // 000000004504: BF84043A
	s_branch label_02CA                                        // 000000004508: BF82FBC7

000000000000450c <label_0703>:
	s_waitcnt vmcnt(18) lgkmcnt(0)                             // 00000000450C: BF8C4072
	s_barrier                                                  // 000000004510: BF8A0000
	v_mfma_f32_16x16x16_bf16 v[44:47], a[128:129], a[0:1], v[44:47]// 000000004514: D3E1002C 1CB20180
	s_add_u32 m0, 0, s42                                       // 00000000451C: 807C2A80
	buffer_load_dword v21, s[4:7], 0 offen lds                 // 000000004520: E0511000 80010015
	ds_read_b128 a[64:67], v37 offset:16512                    // 000000004528: DBFE4080 40000025
	ds_read_b128 a[68:71], v37 offset:16576                    // 000000004530: DBFE40C0 44000025
	v_mfma_f32_16x16x16_bf16 v[44:47], a[130:131], a[2:3], v[44:47]// 000000004538: D3E1002C 1CB20582
	s_add_u32 m0, 0x100, s42                                   // 000000004540: 807C2AFF 00000100
	buffer_load_dword v22, s[4:7], 0 offen lds                 // 000000004548: E0511000 80010016
	v_mfma_f32_16x16x16_bf16 v[44:47], a[132:133], a[4:5], v[44:47]// 000000004550: D3E1002C 1CB20984
	s_add_u32 m0, 0x200, s42                                   // 000000004558: 807C2AFF 00000200
	buffer_load_dword v23, s[4:7], 0 offen lds                 // 000000004560: E0511000 80010017
	ds_read_b128 a[72:75], v37 offset:17024                    // 000000004568: DBFE4280 48000025
	ds_read_b128 a[76:79], v37 offset:17088                    // 000000004570: DBFE42C0 4C000025
	v_mfma_f32_16x16x16_bf16 v[44:47], a[134:135], a[6:7], v[44:47]// 000000004578: D3E1002C 1CB20D86
	s_add_u32 m0, 0x300, s42                                   // 000000004580: 807C2AFF 00000300
	buffer_load_dword v24, s[4:7], 0 offen lds                 // 000000004588: E0511000 80010018
	v_mfma_f32_16x16x16_bf16 v[48:51], a[128:129], a[8:9], v[48:51]// 000000004590: D3E10030 1CC21180
	s_add_u32 m0, 0x400, s42                                   // 000000004598: 807C2AFF 00000400
	buffer_load_dword v25, s[4:7], 0 offen lds                 // 0000000045A0: E0511000 80010019
	ds_read_b128 a[80:83], v37 offset:17536                    // 0000000045A8: DBFE4480 50000025
	ds_read_b128 a[84:87], v37 offset:17600                    // 0000000045B0: DBFE44C0 54000025
	v_mfma_f32_16x16x16_bf16 v[48:51], a[130:131], a[10:11], v[48:51]// 0000000045B8: D3E10030 1CC21582
	s_add_u32 m0, 0x500, s42                                   // 0000000045C0: 807C2AFF 00000500
	buffer_load_dword v26, s[4:7], 0 offen lds                 // 0000000045C8: E0511000 8001001A
	v_mfma_f32_16x16x16_bf16 v[48:51], a[132:133], a[12:13], v[48:51]// 0000000045D0: D3E10030 1CC21984
	s_add_u32 m0, 0x600, s42                                   // 0000000045D8: 807C2AFF 00000600
	buffer_load_dword v27, s[4:7], 0 offen lds                 // 0000000045E0: E0511000 8001001B
	ds_read_b128 a[88:91], v37 offset:18048                    // 0000000045E8: DBFE4680 58000025
	ds_read_b128 a[92:95], v37 offset:18112                    // 0000000045F0: DBFE46C0 5C000025
	v_mfma_f32_16x16x16_bf16 v[48:51], a[134:135], a[14:15], v[48:51]// 0000000045F8: D3E10030 1CC21D86
	s_add_u32 m0, 0x700, s42                                   // 000000004600: 807C2AFF 00000700
	buffer_load_dword v28, s[4:7], 0 offen lds                 // 000000004608: E0511000 8001001C
	v_mfma_f32_16x16x16_bf16 v[52:55], a[128:129], a[16:17], v[52:55]// 000000004610: D3E10034 1CD22180
	s_add_u32 m0, 0x800, s42                                   // 000000004618: 807C2AFF 00000800
	buffer_load_dword v29, s[4:7], 0 offen lds                 // 000000004620: E0511000 8001001D
	ds_read_b128 a[96:99], v37 offset:18560                    // 000000004628: DBFE4880 60000025
	ds_read_b128 a[100:103], v37 offset:18624                  // 000000004630: DBFE48C0 64000025
	v_mfma_f32_16x16x16_bf16 v[52:55], a[130:131], a[18:19], v[52:55]// 000000004638: D3E10034 1CD22582
	s_add_u32 m0, 0x900, s42                                   // 000000004640: 807C2AFF 00000900
	buffer_load_dword v30, s[4:7], 0 offen lds                 // 000000004648: E0511000 8001001E
	v_mfma_f32_16x16x16_bf16 v[52:55], a[132:133], a[20:21], v[52:55]// 000000004650: D3E10034 1CD22984
	s_add_u32 m0, 0xa00, s42                                   // 000000004658: 807C2AFF 00000A00
	buffer_load_dword v31, s[4:7], 0 offen lds                 // 000000004660: E0511000 8001001F
	ds_read_b128 a[104:107], v37 offset:19072                  // 000000004668: DBFE4A80 68000025
	ds_read_b128 a[108:111], v37 offset:19136                  // 000000004670: DBFE4AC0 6C000025
	v_mfma_f32_16x16x16_bf16 v[52:55], a[134:135], a[22:23], v[52:55]// 000000004678: D3E10034 1CD22D86
	s_add_u32 m0, 0xb00, s42                                   // 000000004680: 807C2AFF 00000B00
	buffer_load_dword v32, s[4:7], 0 offen lds                 // 000000004688: E0511000 80010020
	v_mfma_f32_16x16x16_bf16 v[56:59], a[128:129], a[24:25], v[56:59]// 000000004690: D3E10038 1CE23180
	s_add_u32 m0, 0xc00, s42                                   // 000000004698: 807C2AFF 00000C00
	buffer_load_dword v33, s[4:7], 0 offen lds                 // 0000000046A0: E0511000 80010021
	ds_read_b128 a[112:115], v37 offset:19584                  // 0000000046A8: DBFE4C80 70000025
	ds_read_b128 a[116:119], v37 offset:19648                  // 0000000046B0: DBFE4CC0 74000025
	v_mfma_f32_16x16x16_bf16 v[56:59], a[130:131], a[26:27], v[56:59]// 0000000046B8: D3E10038 1CE23582
	s_add_u32 m0, 0xd00, s42                                   // 0000000046C0: 807C2AFF 00000D00
	buffer_load_dword v34, s[4:7], 0 offen lds                 // 0000000046C8: E0511000 80010022
	v_mfma_f32_16x16x16_bf16 v[56:59], a[132:133], a[28:29], v[56:59]// 0000000046D0: D3E10038 1CE23984
	s_add_u32 m0, 0xe00, s42                                   // 0000000046D8: 807C2AFF 00000E00
	buffer_load_dword v35, s[4:7], 0 offen lds                 // 0000000046E0: E0511000 80010023
	ds_read_b128 a[120:123], v37 offset:20096                  // 0000000046E8: DBFE4E80 78000025
	ds_read_b128 a[124:127], v37 offset:20160                  // 0000000046F0: DBFE4EC0 7C000025
	v_mfma_f32_16x16x16_bf16 v[56:59], a[134:135], a[30:31], v[56:59]// 0000000046F8: D3E10038 1CE23D86
	s_add_u32 m0, 0xf00, s42                                   // 000000004700: 807C2AFF 00000F00
	buffer_load_dword v36, s[4:7], 0 offen lds                 // 000000004708: E0511000 80010024
	v_mfma_f32_16x16x16_bf16 v[60:63], a[128:129], a[32:33], v[60:63]// 000000004710: D3E1003C 1CF24180
	s_add_u32 s31, 0x100, s33                                  // 000000004718: 801F21FF 00000100
	s_cmp_lt_u32 s31, s34                                      // 000000004720: BF0A221F
	s_cselect_b32 s40, s40, 0                                  // 000000004724: 85288028
	buffer_load_dwordx4 a[144:147], v38, s[8:11], 0 offen      // 000000004728: E05C1000 80829026
	s_add_u32 s4, s40, s4                                      // 000000004730: 80040428
	s_addc_u32 s5, 0, s5                                       // 000000004734: 82050580
	v_mfma_f32_16x16x16_bf16 v[60:63], a[130:131], a[34:35], v[60:63]// 000000004738: D3E1003C 1CF24582
	buffer_load_dwordx4 a[148:151], v39, s[8:11], 0 offen      // 000000004740: E05C1000 80829427
	v_mfma_f32_16x16x16_bf16 v[60:63], a[132:133], a[36:37], v[60:63]// 000000004748: D3E1003C 1CF24984
	s_add_u32 s31, 0xc0, s33                                   // 000000004750: 801F21FF 000000C0
	s_cmp_lt_u32 s31, s34                                      // 000000004758: BF0A221F
	s_cselect_b32 s41, s41, 0                                  // 00000000475C: 85298029
	s_add_u32 s8, s41, s8                                      // 000000004760: 80080829
	s_addc_u32 s9, 0, s9                                       // 000000004764: 82090980
	v_mfma_f32_16x16x16_bf16 v[60:63], a[134:135], a[38:39], v[60:63]// 000000004768: D3E1003C 1CF24D86
	v_mfma_f32_16x16x16_bf16 v[64:67], a[128:129], a[40:41], v[64:67]// 000000004770: D3E10040 1D025180
	v_mfma_f32_16x16x16_bf16 v[64:67], a[130:131], a[42:43], v[64:67]// 000000004778: D3E10040 1D025582
	v_mfma_f32_16x16x16_bf16 v[64:67], a[132:133], a[44:45], v[64:67]// 000000004780: D3E10040 1D025984
	v_mfma_f32_16x16x16_bf16 v[64:67], a[134:135], a[46:47], v[64:67]// 000000004788: D3E10040 1D025D86
	v_mfma_f32_16x16x16_bf16 v[68:71], a[128:129], a[48:49], v[68:71]// 000000004790: D3E10044 1D126180
	v_mfma_f32_16x16x16_bf16 v[68:71], a[130:131], a[50:51], v[68:71]// 000000004798: D3E10044 1D126582
	v_mfma_f32_16x16x16_bf16 v[68:71], a[132:133], a[52:53], v[68:71]// 0000000047A0: D3E10044 1D126984
	v_mfma_f32_16x16x16_bf16 v[68:71], a[134:135], a[54:55], v[68:71]// 0000000047A8: D3E10044 1D126D86
	v_mfma_f32_16x16x16_bf16 v[72:75], a[128:129], a[56:57], v[72:75]// 0000000047B0: D3E10048 1D227180
	v_mfma_f32_16x16x16_bf16 v[72:75], a[130:131], a[58:59], v[72:75]// 0000000047B8: D3E10048 1D227582
	v_mfma_f32_16x16x16_bf16 v[72:75], a[132:133], a[60:61], v[72:75]// 0000000047C0: D3E10048 1D227984
	v_mfma_f32_16x16x16_bf16 v[72:75], a[134:135], a[62:63], v[72:75]// 0000000047C8: D3E10048 1D227D86
	s_addk_i32 s33, 0x40                                       // 0000000047D0: B7210040
	s_cmp_lt_i32 s33, s34                                      // 0000000047D4: BF042221
	s_cbranch_scc0 label_0B3C                                  // 0000000047D8: BF840385
	s_waitcnt vmcnt(18) lgkmcnt(0)                             // 0000000047DC: BF8C4072
	s_barrier                                                  // 0000000047E0: BF8A0000
	v_mfma_f32_16x16x16_bf16 v[44:47], a[136:137], a[64:65], v[44:47]// 0000000047E4: D3E1002C 1CB28188
	s_add_u32 m0, 0, s43                                       // 0000000047EC: 807C2B80
	buffer_load_dword v21, s[4:7], 0 offen lds                 // 0000000047F0: E0511000 80010015
	ds_read_b128 a[0:3], v37 offset:33024                      // 0000000047F8: DBFE8100 00000025
	ds_read_b128 a[4:7], v37 offset:33088                      // 000000004800: DBFE8140 04000025
	v_mfma_f32_16x16x16_bf16 v[44:47], a[138:139], a[66:67], v[44:47]// 000000004808: D3E1002C 1CB2858A
	s_add_u32 m0, 0x100, s43                                   // 000000004810: 807C2BFF 00000100
	buffer_load_dword v22, s[4:7], 0 offen lds                 // 000000004818: E0511000 80010016
	v_mfma_f32_16x16x16_bf16 v[44:47], a[140:141], a[68:69], v[44:47]// 000000004820: D3E1002C 1CB2898C
	s_add_u32 m0, 0x200, s43                                   // 000000004828: 807C2BFF 00000200
	buffer_load_dword v23, s[4:7], 0 offen lds                 // 000000004830: E0511000 80010017
	ds_read_b128 a[8:11], v37 offset:33536                     // 000000004838: DBFE8300 08000025
	ds_read_b128 a[12:15], v37 offset:33600                    // 000000004840: DBFE8340 0C000025
	v_mfma_f32_16x16x16_bf16 v[44:47], a[142:143], a[70:71], v[44:47]// 000000004848: D3E1002C 1CB28D8E
	s_add_u32 m0, 0x300, s43                                   // 000000004850: 807C2BFF 00000300
	buffer_load_dword v24, s[4:7], 0 offen lds                 // 000000004858: E0511000 80010018
	v_mfma_f32_16x16x16_bf16 v[48:51], a[136:137], a[72:73], v[48:51]// 000000004860: D3E10030 1CC29188
	s_add_u32 m0, 0x400, s43                                   // 000000004868: 807C2BFF 00000400
	buffer_load_dword v25, s[4:7], 0 offen lds                 // 000000004870: E0511000 80010019
	ds_read_b128 a[16:19], v37 offset:34048                    // 000000004878: DBFE8500 10000025
	ds_read_b128 a[20:23], v37 offset:34112                    // 000000004880: DBFE8540 14000025
	v_mfma_f32_16x16x16_bf16 v[48:51], a[138:139], a[74:75], v[48:51]// 000000004888: D3E10030 1CC2958A
	s_add_u32 m0, 0x500, s43                                   // 000000004890: 807C2BFF 00000500
	buffer_load_dword v26, s[4:7], 0 offen lds                 // 000000004898: E0511000 8001001A
	v_mfma_f32_16x16x16_bf16 v[48:51], a[140:141], a[76:77], v[48:51]// 0000000048A0: D3E10030 1CC2998C
	s_add_u32 m0, 0x600, s43                                   // 0000000048A8: 807C2BFF 00000600
	buffer_load_dword v27, s[4:7], 0 offen lds                 // 0000000048B0: E0511000 8001001B
	ds_read_b128 a[24:27], v37 offset:34560                    // 0000000048B8: DBFE8700 18000025
	ds_read_b128 a[28:31], v37 offset:34624                    // 0000000048C0: DBFE8740 1C000025
	v_mfma_f32_16x16x16_bf16 v[48:51], a[142:143], a[78:79], v[48:51]// 0000000048C8: D3E10030 1CC29D8E
	s_add_u32 m0, 0x700, s43                                   // 0000000048D0: 807C2BFF 00000700
	buffer_load_dword v28, s[4:7], 0 offen lds                 // 0000000048D8: E0511000 8001001C
	v_mfma_f32_16x16x16_bf16 v[52:55], a[136:137], a[80:81], v[52:55]// 0000000048E0: D3E10034 1CD2A188
	s_add_u32 m0, 0x800, s43                                   // 0000000048E8: 807C2BFF 00000800
	buffer_load_dword v29, s[4:7], 0 offen lds                 // 0000000048F0: E0511000 8001001D
	ds_read_b128 a[32:35], v37 offset:35072                    // 0000000048F8: DBFE8900 20000025
	ds_read_b128 a[36:39], v37 offset:35136                    // 000000004900: DBFE8940 24000025
	v_mfma_f32_16x16x16_bf16 v[52:55], a[138:139], a[82:83], v[52:55]// 000000004908: D3E10034 1CD2A58A
	s_add_u32 m0, 0x900, s43                                   // 000000004910: 807C2BFF 00000900
	buffer_load_dword v30, s[4:7], 0 offen lds                 // 000000004918: E0511000 8001001E
	v_mfma_f32_16x16x16_bf16 v[52:55], a[140:141], a[84:85], v[52:55]// 000000004920: D3E10034 1CD2A98C
	s_add_u32 m0, 0xa00, s43                                   // 000000004928: 807C2BFF 00000A00
	buffer_load_dword v31, s[4:7], 0 offen lds                 // 000000004930: E0511000 8001001F
	ds_read_b128 a[40:43], v37 offset:35584                    // 000000004938: DBFE8B00 28000025
	ds_read_b128 a[44:47], v37 offset:35648                    // 000000004940: DBFE8B40 2C000025
	v_mfma_f32_16x16x16_bf16 v[52:55], a[142:143], a[86:87], v[52:55]// 000000004948: D3E10034 1CD2AD8E
	s_add_u32 m0, 0xb00, s43                                   // 000000004950: 807C2BFF 00000B00
	buffer_load_dword v32, s[4:7], 0 offen lds                 // 000000004958: E0511000 80010020
	v_mfma_f32_16x16x16_bf16 v[56:59], a[136:137], a[88:89], v[56:59]// 000000004960: D3E10038 1CE2B188
	s_add_u32 m0, 0xc00, s43                                   // 000000004968: 807C2BFF 00000C00
	buffer_load_dword v33, s[4:7], 0 offen lds                 // 000000004970: E0511000 80010021
	ds_read_b128 a[48:51], v37 offset:36096                    // 000000004978: DBFE8D00 30000025
	ds_read_b128 a[52:55], v37 offset:36160                    // 000000004980: DBFE8D40 34000025
	v_mfma_f32_16x16x16_bf16 v[56:59], a[138:139], a[90:91], v[56:59]// 000000004988: D3E10038 1CE2B58A
	s_add_u32 m0, 0xd00, s43                                   // 000000004990: 807C2BFF 00000D00
	buffer_load_dword v34, s[4:7], 0 offen lds                 // 000000004998: E0511000 80010022
	v_mfma_f32_16x16x16_bf16 v[56:59], a[140:141], a[92:93], v[56:59]// 0000000049A0: D3E10038 1CE2B98C
	s_add_u32 m0, 0xe00, s43                                   // 0000000049A8: 807C2BFF 00000E00
	buffer_load_dword v35, s[4:7], 0 offen lds                 // 0000000049B0: E0511000 80010023
	ds_read_b128 a[56:59], v37 offset:36608                    // 0000000049B8: DBFE8F00 38000025
	ds_read_b128 a[60:63], v37 offset:36672                    // 0000000049C0: DBFE8F40 3C000025
	v_mfma_f32_16x16x16_bf16 v[56:59], a[142:143], a[94:95], v[56:59]// 0000000049C8: D3E10038 1CE2BD8E
	s_add_u32 m0, 0xf00, s43                                   // 0000000049D0: 807C2BFF 00000F00
	buffer_load_dword v36, s[4:7], 0 offen lds                 // 0000000049D8: E0511000 80010024
	v_mfma_f32_16x16x16_bf16 v[60:63], a[136:137], a[96:97], v[60:63]// 0000000049E0: D3E1003C 1CF2C188
	s_add_u32 s31, 0x100, s33                                  // 0000000049E8: 801F21FF 00000100
	s_cmp_lt_u32 s31, s34                                      // 0000000049F0: BF0A221F
	s_cselect_b32 s40, s40, 0                                  // 0000000049F4: 85288028
	buffer_load_dwordx4 a[128:131], v38, s[8:11], 0 offen      // 0000000049F8: E05C1000 80828026
	s_add_u32 s4, s40, s4                                      // 000000004A00: 80040428
	s_addc_u32 s5, 0, s5                                       // 000000004A04: 82050580
	v_mfma_f32_16x16x16_bf16 v[60:63], a[138:139], a[98:99], v[60:63]// 000000004A08: D3E1003C 1CF2C58A
	buffer_load_dwordx4 a[132:135], v39, s[8:11], 0 offen      // 000000004A10: E05C1000 80828427
	v_mfma_f32_16x16x16_bf16 v[60:63], a[140:141], a[100:101], v[60:63]// 000000004A18: D3E1003C 1CF2C98C
	s_add_u32 s31, 0xc0, s33                                   // 000000004A20: 801F21FF 000000C0
	s_cmp_lt_u32 s31, s34                                      // 000000004A28: BF0A221F
	s_cselect_b32 s41, s41, 0                                  // 000000004A2C: 85298029
	s_add_u32 s8, s41, s8                                      // 000000004A30: 80080829
	s_addc_u32 s9, 0, s9                                       // 000000004A34: 82090980
	v_mfma_f32_16x16x16_bf16 v[60:63], a[142:143], a[102:103], v[60:63]// 000000004A38: D3E1003C 1CF2CD8E
	v_mfma_f32_16x16x16_bf16 v[64:67], a[136:137], a[104:105], v[64:67]// 000000004A40: D3E10040 1D02D188
	v_mfma_f32_16x16x16_bf16 v[64:67], a[138:139], a[106:107], v[64:67]// 000000004A48: D3E10040 1D02D58A
	v_mfma_f32_16x16x16_bf16 v[64:67], a[140:141], a[108:109], v[64:67]// 000000004A50: D3E10040 1D02D98C
	v_mfma_f32_16x16x16_bf16 v[64:67], a[142:143], a[110:111], v[64:67]// 000000004A58: D3E10040 1D02DD8E
	v_mfma_f32_16x16x16_bf16 v[68:71], a[136:137], a[112:113], v[68:71]// 000000004A60: D3E10044 1D12E188
	v_mfma_f32_16x16x16_bf16 v[68:71], a[138:139], a[114:115], v[68:71]// 000000004A68: D3E10044 1D12E58A
	v_mfma_f32_16x16x16_bf16 v[68:71], a[140:141], a[116:117], v[68:71]// 000000004A70: D3E10044 1D12E98C
	v_mfma_f32_16x16x16_bf16 v[68:71], a[142:143], a[118:119], v[68:71]// 000000004A78: D3E10044 1D12ED8E
	v_mfma_f32_16x16x16_bf16 v[72:75], a[136:137], a[120:121], v[72:75]// 000000004A80: D3E10048 1D22F188
	v_mfma_f32_16x16x16_bf16 v[72:75], a[138:139], a[122:123], v[72:75]// 000000004A88: D3E10048 1D22F58A
	v_mfma_f32_16x16x16_bf16 v[72:75], a[140:141], a[124:125], v[72:75]// 000000004A90: D3E10048 1D22F98C
	v_mfma_f32_16x16x16_bf16 v[72:75], a[142:143], a[126:127], v[72:75]// 000000004A98: D3E10048 1D22FD8E
	s_addk_i32 s33, 0x40                                       // 000000004AA0: B7210040
	s_cmp_lt_i32 s33, s34                                      // 000000004AA4: BF042221
	s_cbranch_scc0 label_0B3C                                  // 000000004AA8: BF8402D1
	s_waitcnt vmcnt(18) lgkmcnt(0)                             // 000000004AAC: BF8C4072
	s_barrier                                                  // 000000004AB0: BF8A0000
	v_mfma_f32_16x16x16_bf16 v[44:47], a[144:145], a[0:1], v[44:47]// 000000004AB4: D3E1002C 1CB20190
	s_add_u32 m0, 0, s44                                       // 000000004ABC: 807C2C80
	buffer_load_dword v21, s[4:7], 0 offen lds                 // 000000004AC0: E0511000 80010015
	ds_read_b128 a[64:67], v37                                 // 000000004AC8: DBFE0000 40000025
	ds_read_b128 a[68:71], v37 offset:64                       // 000000004AD0: DBFE0040 44000025
	v_mfma_f32_16x16x16_bf16 v[44:47], a[146:147], a[2:3], v[44:47]// 000000004AD8: D3E1002C 1CB20592
	s_add_u32 m0, 0x100, s44                                   // 000000004AE0: 807C2CFF 00000100
	buffer_load_dword v22, s[4:7], 0 offen lds                 // 000000004AE8: E0511000 80010016
	v_mfma_f32_16x16x16_bf16 v[44:47], a[148:149], a[4:5], v[44:47]// 000000004AF0: D3E1002C 1CB20994
	s_add_u32 m0, 0x200, s44                                   // 000000004AF8: 807C2CFF 00000200
	buffer_load_dword v23, s[4:7], 0 offen lds                 // 000000004B00: E0511000 80010017
	ds_read_b128 a[72:75], v37 offset:512                      // 000000004B08: DBFE0200 48000025
	ds_read_b128 a[76:79], v37 offset:576                      // 000000004B10: DBFE0240 4C000025
	v_mfma_f32_16x16x16_bf16 v[44:47], a[150:151], a[6:7], v[44:47]// 000000004B18: D3E1002C 1CB20D96
	s_add_u32 m0, 0x300, s44                                   // 000000004B20: 807C2CFF 00000300
	buffer_load_dword v24, s[4:7], 0 offen lds                 // 000000004B28: E0511000 80010018
	v_mfma_f32_16x16x16_bf16 v[48:51], a[144:145], a[8:9], v[48:51]// 000000004B30: D3E10030 1CC21190
	s_add_u32 m0, 0x400, s44                                   // 000000004B38: 807C2CFF 00000400
	buffer_load_dword v25, s[4:7], 0 offen lds                 // 000000004B40: E0511000 80010019
	ds_read_b128 a[80:83], v37 offset:1024                     // 000000004B48: DBFE0400 50000025
	ds_read_b128 a[84:87], v37 offset:1088                     // 000000004B50: DBFE0440 54000025
	v_mfma_f32_16x16x16_bf16 v[48:51], a[146:147], a[10:11], v[48:51]// 000000004B58: D3E10030 1CC21592
	s_add_u32 m0, 0x500, s44                                   // 000000004B60: 807C2CFF 00000500
	buffer_load_dword v26, s[4:7], 0 offen lds                 // 000000004B68: E0511000 8001001A
	v_mfma_f32_16x16x16_bf16 v[48:51], a[148:149], a[12:13], v[48:51]// 000000004B70: D3E10030 1CC21994
	s_add_u32 m0, 0x600, s44                                   // 000000004B78: 807C2CFF 00000600
	buffer_load_dword v27, s[4:7], 0 offen lds                 // 000000004B80: E0511000 8001001B
	ds_read_b128 a[88:91], v37 offset:1536                     // 000000004B88: DBFE0600 58000025
	ds_read_b128 a[92:95], v37 offset:1600                     // 000000004B90: DBFE0640 5C000025
	v_mfma_f32_16x16x16_bf16 v[48:51], a[150:151], a[14:15], v[48:51]// 000000004B98: D3E10030 1CC21D96
	s_add_u32 m0, 0x700, s44                                   // 000000004BA0: 807C2CFF 00000700
	buffer_load_dword v28, s[4:7], 0 offen lds                 // 000000004BA8: E0511000 8001001C
	v_mfma_f32_16x16x16_bf16 v[52:55], a[144:145], a[16:17], v[52:55]// 000000004BB0: D3E10034 1CD22190
	s_add_u32 m0, 0x800, s44                                   // 000000004BB8: 807C2CFF 00000800
	buffer_load_dword v29, s[4:7], 0 offen lds                 // 000000004BC0: E0511000 8001001D
	ds_read_b128 a[96:99], v37 offset:2048                     // 000000004BC8: DBFE0800 60000025
	ds_read_b128 a[100:103], v37 offset:2112                   // 000000004BD0: DBFE0840 64000025
	v_mfma_f32_16x16x16_bf16 v[52:55], a[146:147], a[18:19], v[52:55]// 000000004BD8: D3E10034 1CD22592
	s_add_u32 m0, 0x900, s44                                   // 000000004BE0: 807C2CFF 00000900
	buffer_load_dword v30, s[4:7], 0 offen lds                 // 000000004BE8: E0511000 8001001E
	v_mfma_f32_16x16x16_bf16 v[52:55], a[148:149], a[20:21], v[52:55]// 000000004BF0: D3E10034 1CD22994
	s_add_u32 m0, 0xa00, s44                                   // 000000004BF8: 807C2CFF 00000A00
	buffer_load_dword v31, s[4:7], 0 offen lds                 // 000000004C00: E0511000 8001001F
	ds_read_b128 a[104:107], v37 offset:2560                   // 000000004C08: DBFE0A00 68000025
	ds_read_b128 a[108:111], v37 offset:2624                   // 000000004C10: DBFE0A40 6C000025
	v_mfma_f32_16x16x16_bf16 v[52:55], a[150:151], a[22:23], v[52:55]// 000000004C18: D3E10034 1CD22D96
	s_add_u32 m0, 0xb00, s44                                   // 000000004C20: 807C2CFF 00000B00
	buffer_load_dword v32, s[4:7], 0 offen lds                 // 000000004C28: E0511000 80010020
	v_mfma_f32_16x16x16_bf16 v[56:59], a[144:145], a[24:25], v[56:59]// 000000004C30: D3E10038 1CE23190
	s_add_u32 m0, 0xc00, s44                                   // 000000004C38: 807C2CFF 00000C00
	buffer_load_dword v33, s[4:7], 0 offen lds                 // 000000004C40: E0511000 80010021
	ds_read_b128 a[112:115], v37 offset:3072                   // 000000004C48: DBFE0C00 70000025
	ds_read_b128 a[116:119], v37 offset:3136                   // 000000004C50: DBFE0C40 74000025
	v_mfma_f32_16x16x16_bf16 v[56:59], a[146:147], a[26:27], v[56:59]// 000000004C58: D3E10038 1CE23592
	s_add_u32 m0, 0xd00, s44                                   // 000000004C60: 807C2CFF 00000D00
	buffer_load_dword v34, s[4:7], 0 offen lds                 // 000000004C68: E0511000 80010022
	v_mfma_f32_16x16x16_bf16 v[56:59], a[148:149], a[28:29], v[56:59]// 000000004C70: D3E10038 1CE23994
	s_add_u32 m0, 0xe00, s44                                   // 000000004C78: 807C2CFF 00000E00
	buffer_load_dword v35, s[4:7], 0 offen lds                 // 000000004C80: E0511000 80010023
	ds_read_b128 a[120:123], v37 offset:3584                   // 000000004C88: DBFE0E00 78000025
	ds_read_b128 a[124:127], v37 offset:3648                   // 000000004C90: DBFE0E40 7C000025
	v_mfma_f32_16x16x16_bf16 v[56:59], a[150:151], a[30:31], v[56:59]// 000000004C98: D3E10038 1CE23D96
	s_add_u32 m0, 0xf00, s44                                   // 000000004CA0: 807C2CFF 00000F00
	buffer_load_dword v36, s[4:7], 0 offen lds                 // 000000004CA8: E0511000 80010024
	v_mfma_f32_16x16x16_bf16 v[60:63], a[144:145], a[32:33], v[60:63]// 000000004CB0: D3E1003C 1CF24190
	s_add_u32 s31, 0x100, s33                                  // 000000004CB8: 801F21FF 00000100
	s_cmp_lt_u32 s31, s34                                      // 000000004CC0: BF0A221F
	s_cselect_b32 s40, s40, 0                                  // 000000004CC4: 85288028
	buffer_load_dwordx4 a[136:139], v38, s[8:11], 0 offen      // 000000004CC8: E05C1000 80828826
	s_add_u32 s4, s40, s4                                      // 000000004CD0: 80040428
	s_addc_u32 s5, 0, s5                                       // 000000004CD4: 82050580
	v_mfma_f32_16x16x16_bf16 v[60:63], a[146:147], a[34:35], v[60:63]// 000000004CD8: D3E1003C 1CF24592
	buffer_load_dwordx4 a[140:143], v39, s[8:11], 0 offen      // 000000004CE0: E05C1000 80828C27
	v_mfma_f32_16x16x16_bf16 v[60:63], a[148:149], a[36:37], v[60:63]// 000000004CE8: D3E1003C 1CF24994
	s_add_u32 s31, 0xc0, s33                                   // 000000004CF0: 801F21FF 000000C0
	s_cmp_lt_u32 s31, s34                                      // 000000004CF8: BF0A221F
	s_cselect_b32 s41, s41, 0                                  // 000000004CFC: 85298029
	s_add_u32 s8, s41, s8                                      // 000000004D00: 80080829
	s_addc_u32 s9, 0, s9                                       // 000000004D04: 82090980
	v_mfma_f32_16x16x16_bf16 v[60:63], a[150:151], a[38:39], v[60:63]// 000000004D08: D3E1003C 1CF24D96
	v_mfma_f32_16x16x16_bf16 v[64:67], a[144:145], a[40:41], v[64:67]// 000000004D10: D3E10040 1D025190
	v_mfma_f32_16x16x16_bf16 v[64:67], a[146:147], a[42:43], v[64:67]// 000000004D18: D3E10040 1D025592
	v_mfma_f32_16x16x16_bf16 v[64:67], a[148:149], a[44:45], v[64:67]// 000000004D20: D3E10040 1D025994
	v_mfma_f32_16x16x16_bf16 v[64:67], a[150:151], a[46:47], v[64:67]// 000000004D28: D3E10040 1D025D96
	v_mfma_f32_16x16x16_bf16 v[68:71], a[144:145], a[48:49], v[68:71]// 000000004D30: D3E10044 1D126190
	v_mfma_f32_16x16x16_bf16 v[68:71], a[146:147], a[50:51], v[68:71]// 000000004D38: D3E10044 1D126592
	v_mfma_f32_16x16x16_bf16 v[68:71], a[148:149], a[52:53], v[68:71]// 000000004D40: D3E10044 1D126994
	v_mfma_f32_16x16x16_bf16 v[68:71], a[150:151], a[54:55], v[68:71]// 000000004D48: D3E10044 1D126D96
	v_mfma_f32_16x16x16_bf16 v[72:75], a[144:145], a[56:57], v[72:75]// 000000004D50: D3E10048 1D227190
	v_mfma_f32_16x16x16_bf16 v[72:75], a[146:147], a[58:59], v[72:75]// 000000004D58: D3E10048 1D227592
	v_mfma_f32_16x16x16_bf16 v[72:75], a[148:149], a[60:61], v[72:75]// 000000004D60: D3E10048 1D227994
	v_mfma_f32_16x16x16_bf16 v[72:75], a[150:151], a[62:63], v[72:75]// 000000004D68: D3E10048 1D227D96
	s_addk_i32 s33, 0x40                                       // 000000004D70: B7210040
	s_cmp_lt_i32 s33, s34                                      // 000000004D74: BF042221
	s_cbranch_scc0 label_0B3C                                  // 000000004D78: BF84021D
	s_waitcnt vmcnt(18) lgkmcnt(0)                             // 000000004D7C: BF8C4072
	s_barrier                                                  // 000000004D80: BF8A0000
	v_mfma_f32_16x16x16_bf16 v[44:47], a[128:129], a[64:65], v[44:47]// 000000004D84: D3E1002C 1CB28180
	s_add_u32 m0, 0, s42                                       // 000000004D8C: 807C2A80
	buffer_load_dword v21, s[4:7], 0 offen lds                 // 000000004D90: E0511000 80010015
	ds_read_b128 a[0:3], v37 offset:16512                      // 000000004D98: DBFE4080 00000025
	ds_read_b128 a[4:7], v37 offset:16576                      // 000000004DA0: DBFE40C0 04000025
	v_mfma_f32_16x16x16_bf16 v[44:47], a[130:131], a[66:67], v[44:47]// 000000004DA8: D3E1002C 1CB28582
	s_add_u32 m0, 0x100, s42                                   // 000000004DB0: 807C2AFF 00000100
	buffer_load_dword v22, s[4:7], 0 offen lds                 // 000000004DB8: E0511000 80010016
	v_mfma_f32_16x16x16_bf16 v[44:47], a[132:133], a[68:69], v[44:47]// 000000004DC0: D3E1002C 1CB28984
	s_add_u32 m0, 0x200, s42                                   // 000000004DC8: 807C2AFF 00000200
	buffer_load_dword v23, s[4:7], 0 offen lds                 // 000000004DD0: E0511000 80010017
	ds_read_b128 a[8:11], v37 offset:17024                     // 000000004DD8: DBFE4280 08000025
	ds_read_b128 a[12:15], v37 offset:17088                    // 000000004DE0: DBFE42C0 0C000025
	v_mfma_f32_16x16x16_bf16 v[44:47], a[134:135], a[70:71], v[44:47]// 000000004DE8: D3E1002C 1CB28D86
	s_add_u32 m0, 0x300, s42                                   // 000000004DF0: 807C2AFF 00000300
	buffer_load_dword v24, s[4:7], 0 offen lds                 // 000000004DF8: E0511000 80010018
	v_mfma_f32_16x16x16_bf16 v[48:51], a[128:129], a[72:73], v[48:51]// 000000004E00: D3E10030 1CC29180
	s_add_u32 m0, 0x400, s42                                   // 000000004E08: 807C2AFF 00000400
	buffer_load_dword v25, s[4:7], 0 offen lds                 // 000000004E10: E0511000 80010019
	ds_read_b128 a[16:19], v37 offset:17536                    // 000000004E18: DBFE4480 10000025
	ds_read_b128 a[20:23], v37 offset:17600                    // 000000004E20: DBFE44C0 14000025
	v_mfma_f32_16x16x16_bf16 v[48:51], a[130:131], a[74:75], v[48:51]// 000000004E28: D3E10030 1CC29582
	s_add_u32 m0, 0x500, s42                                   // 000000004E30: 807C2AFF 00000500
	buffer_load_dword v26, s[4:7], 0 offen lds                 // 000000004E38: E0511000 8001001A
	v_mfma_f32_16x16x16_bf16 v[48:51], a[132:133], a[76:77], v[48:51]// 000000004E40: D3E10030 1CC29984
	s_add_u32 m0, 0x600, s42                                   // 000000004E48: 807C2AFF 00000600
	buffer_load_dword v27, s[4:7], 0 offen lds                 // 000000004E50: E0511000 8001001B
	ds_read_b128 a[24:27], v37 offset:18048                    // 000000004E58: DBFE4680 18000025
	ds_read_b128 a[28:31], v37 offset:18112                    // 000000004E60: DBFE46C0 1C000025
	v_mfma_f32_16x16x16_bf16 v[48:51], a[134:135], a[78:79], v[48:51]// 000000004E68: D3E10030 1CC29D86
	s_add_u32 m0, 0x700, s42                                   // 000000004E70: 807C2AFF 00000700
	buffer_load_dword v28, s[4:7], 0 offen lds                 // 000000004E78: E0511000 8001001C
	v_mfma_f32_16x16x16_bf16 v[52:55], a[128:129], a[80:81], v[52:55]// 000000004E80: D3E10034 1CD2A180
	s_add_u32 m0, 0x800, s42                                   // 000000004E88: 807C2AFF 00000800
	buffer_load_dword v29, s[4:7], 0 offen lds                 // 000000004E90: E0511000 8001001D
	ds_read_b128 a[32:35], v37 offset:18560                    // 000000004E98: DBFE4880 20000025
	ds_read_b128 a[36:39], v37 offset:18624                    // 000000004EA0: DBFE48C0 24000025
	v_mfma_f32_16x16x16_bf16 v[52:55], a[130:131], a[82:83], v[52:55]// 000000004EA8: D3E10034 1CD2A582
	s_add_u32 m0, 0x900, s42                                   // 000000004EB0: 807C2AFF 00000900
	buffer_load_dword v30, s[4:7], 0 offen lds                 // 000000004EB8: E0511000 8001001E
	v_mfma_f32_16x16x16_bf16 v[52:55], a[132:133], a[84:85], v[52:55]// 000000004EC0: D3E10034 1CD2A984
	s_add_u32 m0, 0xa00, s42                                   // 000000004EC8: 807C2AFF 00000A00
	buffer_load_dword v31, s[4:7], 0 offen lds                 // 000000004ED0: E0511000 8001001F
	ds_read_b128 a[40:43], v37 offset:19072                    // 000000004ED8: DBFE4A80 28000025
	ds_read_b128 a[44:47], v37 offset:19136                    // 000000004EE0: DBFE4AC0 2C000025
	v_mfma_f32_16x16x16_bf16 v[52:55], a[134:135], a[86:87], v[52:55]// 000000004EE8: D3E10034 1CD2AD86
	s_add_u32 m0, 0xb00, s42                                   // 000000004EF0: 807C2AFF 00000B00
	buffer_load_dword v32, s[4:7], 0 offen lds                 // 000000004EF8: E0511000 80010020
	v_mfma_f32_16x16x16_bf16 v[56:59], a[128:129], a[88:89], v[56:59]// 000000004F00: D3E10038 1CE2B180
	s_add_u32 m0, 0xc00, s42                                   // 000000004F08: 807C2AFF 00000C00
	buffer_load_dword v33, s[4:7], 0 offen lds                 // 000000004F10: E0511000 80010021
	ds_read_b128 a[48:51], v37 offset:19584                    // 000000004F18: DBFE4C80 30000025
	ds_read_b128 a[52:55], v37 offset:19648                    // 000000004F20: DBFE4CC0 34000025
	v_mfma_f32_16x16x16_bf16 v[56:59], a[130:131], a[90:91], v[56:59]// 000000004F28: D3E10038 1CE2B582
	s_add_u32 m0, 0xd00, s42                                   // 000000004F30: 807C2AFF 00000D00
	buffer_load_dword v34, s[4:7], 0 offen lds                 // 000000004F38: E0511000 80010022
	v_mfma_f32_16x16x16_bf16 v[56:59], a[132:133], a[92:93], v[56:59]// 000000004F40: D3E10038 1CE2B984
	s_add_u32 m0, 0xe00, s42                                   // 000000004F48: 807C2AFF 00000E00
	buffer_load_dword v35, s[4:7], 0 offen lds                 // 000000004F50: E0511000 80010023
	ds_read_b128 a[56:59], v37 offset:20096                    // 000000004F58: DBFE4E80 38000025
	ds_read_b128 a[60:63], v37 offset:20160                    // 000000004F60: DBFE4EC0 3C000025
	v_mfma_f32_16x16x16_bf16 v[56:59], a[134:135], a[94:95], v[56:59]// 000000004F68: D3E10038 1CE2BD86
	s_add_u32 m0, 0xf00, s42                                   // 000000004F70: 807C2AFF 00000F00
	buffer_load_dword v36, s[4:7], 0 offen lds                 // 000000004F78: E0511000 80010024
	v_mfma_f32_16x16x16_bf16 v[60:63], a[128:129], a[96:97], v[60:63]// 000000004F80: D3E1003C 1CF2C180
	s_add_u32 s31, 0x100, s33                                  // 000000004F88: 801F21FF 00000100
	s_cmp_lt_u32 s31, s34                                      // 000000004F90: BF0A221F
	s_cselect_b32 s40, s40, 0                                  // 000000004F94: 85288028
	buffer_load_dwordx4 a[144:147], v38, s[8:11], 0 offen      // 000000004F98: E05C1000 80829026
	s_add_u32 s4, s40, s4                                      // 000000004FA0: 80040428
	s_addc_u32 s5, 0, s5                                       // 000000004FA4: 82050580
	v_mfma_f32_16x16x16_bf16 v[60:63], a[130:131], a[98:99], v[60:63]// 000000004FA8: D3E1003C 1CF2C582
	buffer_load_dwordx4 a[148:151], v39, s[8:11], 0 offen      // 000000004FB0: E05C1000 80829427
	v_mfma_f32_16x16x16_bf16 v[60:63], a[132:133], a[100:101], v[60:63]// 000000004FB8: D3E1003C 1CF2C984
	s_add_u32 s31, 0xc0, s33                                   // 000000004FC0: 801F21FF 000000C0
	s_cmp_lt_u32 s31, s34                                      // 000000004FC8: BF0A221F
	s_cselect_b32 s41, s41, 0                                  // 000000004FCC: 85298029
	s_add_u32 s8, s41, s8                                      // 000000004FD0: 80080829
	s_addc_u32 s9, 0, s9                                       // 000000004FD4: 82090980
	v_mfma_f32_16x16x16_bf16 v[60:63], a[134:135], a[102:103], v[60:63]// 000000004FD8: D3E1003C 1CF2CD86
	v_mfma_f32_16x16x16_bf16 v[64:67], a[128:129], a[104:105], v[64:67]// 000000004FE0: D3E10040 1D02D180
	v_mfma_f32_16x16x16_bf16 v[64:67], a[130:131], a[106:107], v[64:67]// 000000004FE8: D3E10040 1D02D582
	v_mfma_f32_16x16x16_bf16 v[64:67], a[132:133], a[108:109], v[64:67]// 000000004FF0: D3E10040 1D02D984
	v_mfma_f32_16x16x16_bf16 v[64:67], a[134:135], a[110:111], v[64:67]// 000000004FF8: D3E10040 1D02DD86
	v_mfma_f32_16x16x16_bf16 v[68:71], a[128:129], a[112:113], v[68:71]// 000000005000: D3E10044 1D12E180
	v_mfma_f32_16x16x16_bf16 v[68:71], a[130:131], a[114:115], v[68:71]// 000000005008: D3E10044 1D12E582
	v_mfma_f32_16x16x16_bf16 v[68:71], a[132:133], a[116:117], v[68:71]// 000000005010: D3E10044 1D12E984
	v_mfma_f32_16x16x16_bf16 v[68:71], a[134:135], a[118:119], v[68:71]// 000000005018: D3E10044 1D12ED86
	v_mfma_f32_16x16x16_bf16 v[72:75], a[128:129], a[120:121], v[72:75]// 000000005020: D3E10048 1D22F180
	v_mfma_f32_16x16x16_bf16 v[72:75], a[130:131], a[122:123], v[72:75]// 000000005028: D3E10048 1D22F582
	v_mfma_f32_16x16x16_bf16 v[72:75], a[132:133], a[124:125], v[72:75]// 000000005030: D3E10048 1D22F984
	v_mfma_f32_16x16x16_bf16 v[72:75], a[134:135], a[126:127], v[72:75]// 000000005038: D3E10048 1D22FD86
	s_addk_i32 s33, 0x40                                       // 000000005040: B7210040
	s_cmp_lt_i32 s33, s34                                      // 000000005044: BF042221
	s_cbranch_scc0 label_0B3C                                  // 000000005048: BF840169
	s_waitcnt vmcnt(18) lgkmcnt(0)                             // 00000000504C: BF8C4072
	s_barrier                                                  // 000000005050: BF8A0000
	v_mfma_f32_16x16x16_bf16 v[44:47], a[136:137], a[0:1], v[44:47]// 000000005054: D3E1002C 1CB20188
	s_add_u32 m0, 0, s43                                       // 00000000505C: 807C2B80
	buffer_load_dword v21, s[4:7], 0 offen lds                 // 000000005060: E0511000 80010015
	ds_read_b128 a[64:67], v37 offset:33024                    // 000000005068: DBFE8100 40000025
	ds_read_b128 a[68:71], v37 offset:33088                    // 000000005070: DBFE8140 44000025
	v_mfma_f32_16x16x16_bf16 v[44:47], a[138:139], a[2:3], v[44:47]// 000000005078: D3E1002C 1CB2058A
	s_add_u32 m0, 0x100, s43                                   // 000000005080: 807C2BFF 00000100
	buffer_load_dword v22, s[4:7], 0 offen lds                 // 000000005088: E0511000 80010016
	v_mfma_f32_16x16x16_bf16 v[44:47], a[140:141], a[4:5], v[44:47]// 000000005090: D3E1002C 1CB2098C
	s_add_u32 m0, 0x200, s43                                   // 000000005098: 807C2BFF 00000200
	buffer_load_dword v23, s[4:7], 0 offen lds                 // 0000000050A0: E0511000 80010017
	ds_read_b128 a[72:75], v37 offset:33536                    // 0000000050A8: DBFE8300 48000025
	ds_read_b128 a[76:79], v37 offset:33600                    // 0000000050B0: DBFE8340 4C000025
	v_mfma_f32_16x16x16_bf16 v[44:47], a[142:143], a[6:7], v[44:47]// 0000000050B8: D3E1002C 1CB20D8E
	s_add_u32 m0, 0x300, s43                                   // 0000000050C0: 807C2BFF 00000300
	buffer_load_dword v24, s[4:7], 0 offen lds                 // 0000000050C8: E0511000 80010018
	v_mfma_f32_16x16x16_bf16 v[48:51], a[136:137], a[8:9], v[48:51]// 0000000050D0: D3E10030 1CC21188
	s_add_u32 m0, 0x400, s43                                   // 0000000050D8: 807C2BFF 00000400
	buffer_load_dword v25, s[4:7], 0 offen lds                 // 0000000050E0: E0511000 80010019
	ds_read_b128 a[80:83], v37 offset:34048                    // 0000000050E8: DBFE8500 50000025
	ds_read_b128 a[84:87], v37 offset:34112                    // 0000000050F0: DBFE8540 54000025
	v_mfma_f32_16x16x16_bf16 v[48:51], a[138:139], a[10:11], v[48:51]// 0000000050F8: D3E10030 1CC2158A
	s_add_u32 m0, 0x500, s43                                   // 000000005100: 807C2BFF 00000500
	buffer_load_dword v26, s[4:7], 0 offen lds                 // 000000005108: E0511000 8001001A
	v_mfma_f32_16x16x16_bf16 v[48:51], a[140:141], a[12:13], v[48:51]// 000000005110: D3E10030 1CC2198C
	s_add_u32 m0, 0x600, s43                                   // 000000005118: 807C2BFF 00000600
	buffer_load_dword v27, s[4:7], 0 offen lds                 // 000000005120: E0511000 8001001B
	ds_read_b128 a[88:91], v37 offset:34560                    // 000000005128: DBFE8700 58000025
	ds_read_b128 a[92:95], v37 offset:34624                    // 000000005130: DBFE8740 5C000025
	v_mfma_f32_16x16x16_bf16 v[48:51], a[142:143], a[14:15], v[48:51]// 000000005138: D3E10030 1CC21D8E
	s_add_u32 m0, 0x700, s43                                   // 000000005140: 807C2BFF 00000700
	buffer_load_dword v28, s[4:7], 0 offen lds                 // 000000005148: E0511000 8001001C
	v_mfma_f32_16x16x16_bf16 v[52:55], a[136:137], a[16:17], v[52:55]// 000000005150: D3E10034 1CD22188
	s_add_u32 m0, 0x800, s43                                   // 000000005158: 807C2BFF 00000800
	buffer_load_dword v29, s[4:7], 0 offen lds                 // 000000005160: E0511000 8001001D
	ds_read_b128 a[96:99], v37 offset:35072                    // 000000005168: DBFE8900 60000025
	ds_read_b128 a[100:103], v37 offset:35136                  // 000000005170: DBFE8940 64000025
	v_mfma_f32_16x16x16_bf16 v[52:55], a[138:139], a[18:19], v[52:55]// 000000005178: D3E10034 1CD2258A
	s_add_u32 m0, 0x900, s43                                   // 000000005180: 807C2BFF 00000900
	buffer_load_dword v30, s[4:7], 0 offen lds                 // 000000005188: E0511000 8001001E
	v_mfma_f32_16x16x16_bf16 v[52:55], a[140:141], a[20:21], v[52:55]// 000000005190: D3E10034 1CD2298C
	s_add_u32 m0, 0xa00, s43                                   // 000000005198: 807C2BFF 00000A00
	buffer_load_dword v31, s[4:7], 0 offen lds                 // 0000000051A0: E0511000 8001001F
	ds_read_b128 a[104:107], v37 offset:35584                  // 0000000051A8: DBFE8B00 68000025
	ds_read_b128 a[108:111], v37 offset:35648                  // 0000000051B0: DBFE8B40 6C000025
	v_mfma_f32_16x16x16_bf16 v[52:55], a[142:143], a[22:23], v[52:55]// 0000000051B8: D3E10034 1CD22D8E
	s_add_u32 m0, 0xb00, s43                                   // 0000000051C0: 807C2BFF 00000B00
	buffer_load_dword v32, s[4:7], 0 offen lds                 // 0000000051C8: E0511000 80010020
	v_mfma_f32_16x16x16_bf16 v[56:59], a[136:137], a[24:25], v[56:59]// 0000000051D0: D3E10038 1CE23188
	s_add_u32 m0, 0xc00, s43                                   // 0000000051D8: 807C2BFF 00000C00
	buffer_load_dword v33, s[4:7], 0 offen lds                 // 0000000051E0: E0511000 80010021
	ds_read_b128 a[112:115], v37 offset:36096                  // 0000000051E8: DBFE8D00 70000025
	ds_read_b128 a[116:119], v37 offset:36160                  // 0000000051F0: DBFE8D40 74000025
	v_mfma_f32_16x16x16_bf16 v[56:59], a[138:139], a[26:27], v[56:59]// 0000000051F8: D3E10038 1CE2358A
	s_add_u32 m0, 0xd00, s43                                   // 000000005200: 807C2BFF 00000D00
	buffer_load_dword v34, s[4:7], 0 offen lds                 // 000000005208: E0511000 80010022
	v_mfma_f32_16x16x16_bf16 v[56:59], a[140:141], a[28:29], v[56:59]// 000000005210: D3E10038 1CE2398C
	s_add_u32 m0, 0xe00, s43                                   // 000000005218: 807C2BFF 00000E00
	buffer_load_dword v35, s[4:7], 0 offen lds                 // 000000005220: E0511000 80010023
	ds_read_b128 a[120:123], v37 offset:36608                  // 000000005228: DBFE8F00 78000025
	ds_read_b128 a[124:127], v37 offset:36672                  // 000000005230: DBFE8F40 7C000025
	v_mfma_f32_16x16x16_bf16 v[56:59], a[142:143], a[30:31], v[56:59]// 000000005238: D3E10038 1CE23D8E
	s_add_u32 m0, 0xf00, s43                                   // 000000005240: 807C2BFF 00000F00
	buffer_load_dword v36, s[4:7], 0 offen lds                 // 000000005248: E0511000 80010024
	v_mfma_f32_16x16x16_bf16 v[60:63], a[136:137], a[32:33], v[60:63]// 000000005250: D3E1003C 1CF24188
	s_add_u32 s31, 0x100, s33                                  // 000000005258: 801F21FF 00000100
	s_cmp_lt_u32 s31, s34                                      // 000000005260: BF0A221F
	s_cselect_b32 s40, s40, 0                                  // 000000005264: 85288028
	buffer_load_dwordx4 a[128:131], v38, s[8:11], 0 offen      // 000000005268: E05C1000 80828026
	s_add_u32 s4, s40, s4                                      // 000000005270: 80040428
	s_addc_u32 s5, 0, s5                                       // 000000005274: 82050580
	v_mfma_f32_16x16x16_bf16 v[60:63], a[138:139], a[34:35], v[60:63]// 000000005278: D3E1003C 1CF2458A
	buffer_load_dwordx4 a[132:135], v39, s[8:11], 0 offen      // 000000005280: E05C1000 80828427
	v_mfma_f32_16x16x16_bf16 v[60:63], a[140:141], a[36:37], v[60:63]// 000000005288: D3E1003C 1CF2498C
	s_add_u32 s31, 0xc0, s33                                   // 000000005290: 801F21FF 000000C0
	s_cmp_lt_u32 s31, s34                                      // 000000005298: BF0A221F
	s_cselect_b32 s41, s41, 0                                  // 00000000529C: 85298029
	s_add_u32 s8, s41, s8                                      // 0000000052A0: 80080829
	s_addc_u32 s9, 0, s9                                       // 0000000052A4: 82090980
	v_mfma_f32_16x16x16_bf16 v[60:63], a[142:143], a[38:39], v[60:63]// 0000000052A8: D3E1003C 1CF24D8E
	v_mfma_f32_16x16x16_bf16 v[64:67], a[136:137], a[40:41], v[64:67]// 0000000052B0: D3E10040 1D025188
	v_mfma_f32_16x16x16_bf16 v[64:67], a[138:139], a[42:43], v[64:67]// 0000000052B8: D3E10040 1D02558A
	v_mfma_f32_16x16x16_bf16 v[64:67], a[140:141], a[44:45], v[64:67]// 0000000052C0: D3E10040 1D02598C
	v_mfma_f32_16x16x16_bf16 v[64:67], a[142:143], a[46:47], v[64:67]// 0000000052C8: D3E10040 1D025D8E
	v_mfma_f32_16x16x16_bf16 v[68:71], a[136:137], a[48:49], v[68:71]// 0000000052D0: D3E10044 1D126188
	v_mfma_f32_16x16x16_bf16 v[68:71], a[138:139], a[50:51], v[68:71]// 0000000052D8: D3E10044 1D12658A
	v_mfma_f32_16x16x16_bf16 v[68:71], a[140:141], a[52:53], v[68:71]// 0000000052E0: D3E10044 1D12698C
	v_mfma_f32_16x16x16_bf16 v[68:71], a[142:143], a[54:55], v[68:71]// 0000000052E8: D3E10044 1D126D8E
	v_mfma_f32_16x16x16_bf16 v[72:75], a[136:137], a[56:57], v[72:75]// 0000000052F0: D3E10048 1D227188
	v_mfma_f32_16x16x16_bf16 v[72:75], a[138:139], a[58:59], v[72:75]// 0000000052F8: D3E10048 1D22758A
	v_mfma_f32_16x16x16_bf16 v[72:75], a[140:141], a[60:61], v[72:75]// 000000005300: D3E10048 1D22798C
	v_mfma_f32_16x16x16_bf16 v[72:75], a[142:143], a[62:63], v[72:75]// 000000005308: D3E10048 1D227D8E
	s_addk_i32 s33, 0x40                                       // 000000005310: B7210040
	s_cmp_lt_i32 s33, s34                                      // 000000005314: BF042221
	s_cbranch_scc0 label_0B3C                                  // 000000005318: BF8400B5
	s_waitcnt vmcnt(18) lgkmcnt(0)                             // 00000000531C: BF8C4072
	s_barrier                                                  // 000000005320: BF8A0000
	v_mfma_f32_16x16x16_bf16 v[44:47], a[144:145], a[64:65], v[44:47]// 000000005324: D3E1002C 1CB28190
	s_add_u32 m0, 0, s44                                       // 00000000532C: 807C2C80
	buffer_load_dword v21, s[4:7], 0 offen lds                 // 000000005330: E0511000 80010015
	ds_read_b128 a[0:3], v37                                   // 000000005338: DBFE0000 00000025
	ds_read_b128 a[4:7], v37 offset:64                         // 000000005340: DBFE0040 04000025
	v_mfma_f32_16x16x16_bf16 v[44:47], a[146:147], a[66:67], v[44:47]// 000000005348: D3E1002C 1CB28592
	s_add_u32 m0, 0x100, s44                                   // 000000005350: 807C2CFF 00000100
	buffer_load_dword v22, s[4:7], 0 offen lds                 // 000000005358: E0511000 80010016
	v_mfma_f32_16x16x16_bf16 v[44:47], a[148:149], a[68:69], v[44:47]// 000000005360: D3E1002C 1CB28994
	s_add_u32 m0, 0x200, s44                                   // 000000005368: 807C2CFF 00000200
	buffer_load_dword v23, s[4:7], 0 offen lds                 // 000000005370: E0511000 80010017
	ds_read_b128 a[8:11], v37 offset:512                       // 000000005378: DBFE0200 08000025
	ds_read_b128 a[12:15], v37 offset:576                      // 000000005380: DBFE0240 0C000025
	v_mfma_f32_16x16x16_bf16 v[44:47], a[150:151], a[70:71], v[44:47]// 000000005388: D3E1002C 1CB28D96
	s_add_u32 m0, 0x300, s44                                   // 000000005390: 807C2CFF 00000300
	buffer_load_dword v24, s[4:7], 0 offen lds                 // 000000005398: E0511000 80010018
	v_mfma_f32_16x16x16_bf16 v[48:51], a[144:145], a[72:73], v[48:51]// 0000000053A0: D3E10030 1CC29190
	s_add_u32 m0, 0x400, s44                                   // 0000000053A8: 807C2CFF 00000400
	buffer_load_dword v25, s[4:7], 0 offen lds                 // 0000000053B0: E0511000 80010019
	ds_read_b128 a[16:19], v37 offset:1024                     // 0000000053B8: DBFE0400 10000025
	ds_read_b128 a[20:23], v37 offset:1088                     // 0000000053C0: DBFE0440 14000025
	v_mfma_f32_16x16x16_bf16 v[48:51], a[146:147], a[74:75], v[48:51]// 0000000053C8: D3E10030 1CC29592
	s_add_u32 m0, 0x500, s44                                   // 0000000053D0: 807C2CFF 00000500
	buffer_load_dword v26, s[4:7], 0 offen lds                 // 0000000053D8: E0511000 8001001A
	v_mfma_f32_16x16x16_bf16 v[48:51], a[148:149], a[76:77], v[48:51]// 0000000053E0: D3E10030 1CC29994
	s_add_u32 m0, 0x600, s44                                   // 0000000053E8: 807C2CFF 00000600
	buffer_load_dword v27, s[4:7], 0 offen lds                 // 0000000053F0: E0511000 8001001B
	ds_read_b128 a[24:27], v37 offset:1536                     // 0000000053F8: DBFE0600 18000025
	ds_read_b128 a[28:31], v37 offset:1600                     // 000000005400: DBFE0640 1C000025
	v_mfma_f32_16x16x16_bf16 v[48:51], a[150:151], a[78:79], v[48:51]// 000000005408: D3E10030 1CC29D96
	s_add_u32 m0, 0x700, s44                                   // 000000005410: 807C2CFF 00000700
	buffer_load_dword v28, s[4:7], 0 offen lds                 // 000000005418: E0511000 8001001C
	v_mfma_f32_16x16x16_bf16 v[52:55], a[144:145], a[80:81], v[52:55]// 000000005420: D3E10034 1CD2A190
	s_add_u32 m0, 0x800, s44                                   // 000000005428: 807C2CFF 00000800
	buffer_load_dword v29, s[4:7], 0 offen lds                 // 000000005430: E0511000 8001001D
	ds_read_b128 a[32:35], v37 offset:2048                     // 000000005438: DBFE0800 20000025
	ds_read_b128 a[36:39], v37 offset:2112                     // 000000005440: DBFE0840 24000025
	v_mfma_f32_16x16x16_bf16 v[52:55], a[146:147], a[82:83], v[52:55]// 000000005448: D3E10034 1CD2A592
	s_add_u32 m0, 0x900, s44                                   // 000000005450: 807C2CFF 00000900
	buffer_load_dword v30, s[4:7], 0 offen lds                 // 000000005458: E0511000 8001001E
	v_mfma_f32_16x16x16_bf16 v[52:55], a[148:149], a[84:85], v[52:55]// 000000005460: D3E10034 1CD2A994
	s_add_u32 m0, 0xa00, s44                                   // 000000005468: 807C2CFF 00000A00
	buffer_load_dword v31, s[4:7], 0 offen lds                 // 000000005470: E0511000 8001001F
	ds_read_b128 a[40:43], v37 offset:2560                     // 000000005478: DBFE0A00 28000025
	ds_read_b128 a[44:47], v37 offset:2624                     // 000000005480: DBFE0A40 2C000025
	v_mfma_f32_16x16x16_bf16 v[52:55], a[150:151], a[86:87], v[52:55]// 000000005488: D3E10034 1CD2AD96
	s_add_u32 m0, 0xb00, s44                                   // 000000005490: 807C2CFF 00000B00
	buffer_load_dword v32, s[4:7], 0 offen lds                 // 000000005498: E0511000 80010020
	v_mfma_f32_16x16x16_bf16 v[56:59], a[144:145], a[88:89], v[56:59]// 0000000054A0: D3E10038 1CE2B190
	s_add_u32 m0, 0xc00, s44                                   // 0000000054A8: 807C2CFF 00000C00
	buffer_load_dword v33, s[4:7], 0 offen lds                 // 0000000054B0: E0511000 80010021
	ds_read_b128 a[48:51], v37 offset:3072                     // 0000000054B8: DBFE0C00 30000025
	ds_read_b128 a[52:55], v37 offset:3136                     // 0000000054C0: DBFE0C40 34000025
	v_mfma_f32_16x16x16_bf16 v[56:59], a[146:147], a[90:91], v[56:59]// 0000000054C8: D3E10038 1CE2B592
	s_add_u32 m0, 0xd00, s44                                   // 0000000054D0: 807C2CFF 00000D00
	buffer_load_dword v34, s[4:7], 0 offen lds                 // 0000000054D8: E0511000 80010022
	v_mfma_f32_16x16x16_bf16 v[56:59], a[148:149], a[92:93], v[56:59]// 0000000054E0: D3E10038 1CE2B994
	s_add_u32 m0, 0xe00, s44                                   // 0000000054E8: 807C2CFF 00000E00
	buffer_load_dword v35, s[4:7], 0 offen lds                 // 0000000054F0: E0511000 80010023
	ds_read_b128 a[56:59], v37 offset:3584                     // 0000000054F8: DBFE0E00 38000025
	ds_read_b128 a[60:63], v37 offset:3648                     // 000000005500: DBFE0E40 3C000025
	v_mfma_f32_16x16x16_bf16 v[56:59], a[150:151], a[94:95], v[56:59]// 000000005508: D3E10038 1CE2BD96
	s_add_u32 m0, 0xf00, s44                                   // 000000005510: 807C2CFF 00000F00
	buffer_load_dword v36, s[4:7], 0 offen lds                 // 000000005518: E0511000 80010024
	v_mfma_f32_16x16x16_bf16 v[60:63], a[144:145], a[96:97], v[60:63]// 000000005520: D3E1003C 1CF2C190
	s_add_u32 s31, 0x100, s33                                  // 000000005528: 801F21FF 00000100
	s_cmp_lt_u32 s31, s34                                      // 000000005530: BF0A221F
	s_cselect_b32 s40, s40, 0                                  // 000000005534: 85288028
	buffer_load_dwordx4 a[136:139], v38, s[8:11], 0 offen      // 000000005538: E05C1000 80828826
	s_add_u32 s4, s40, s4                                      // 000000005540: 80040428
	s_addc_u32 s5, 0, s5                                       // 000000005544: 82050580
	v_mfma_f32_16x16x16_bf16 v[60:63], a[146:147], a[98:99], v[60:63]// 000000005548: D3E1003C 1CF2C592
	buffer_load_dwordx4 a[140:143], v39, s[8:11], 0 offen      // 000000005550: E05C1000 80828C27
	v_mfma_f32_16x16x16_bf16 v[60:63], a[148:149], a[100:101], v[60:63]// 000000005558: D3E1003C 1CF2C994
	s_add_u32 s31, 0xc0, s33                                   // 000000005560: 801F21FF 000000C0
	s_cmp_lt_u32 s31, s34                                      // 000000005568: BF0A221F
	s_cselect_b32 s41, s41, 0                                  // 00000000556C: 85298029
	s_add_u32 s8, s41, s8                                      // 000000005570: 80080829
	s_addc_u32 s9, 0, s9                                       // 000000005574: 82090980
	v_mfma_f32_16x16x16_bf16 v[60:63], a[150:151], a[102:103], v[60:63]// 000000005578: D3E1003C 1CF2CD96
	v_mfma_f32_16x16x16_bf16 v[64:67], a[144:145], a[104:105], v[64:67]// 000000005580: D3E10040 1D02D190
	v_mfma_f32_16x16x16_bf16 v[64:67], a[146:147], a[106:107], v[64:67]// 000000005588: D3E10040 1D02D592
	v_mfma_f32_16x16x16_bf16 v[64:67], a[148:149], a[108:109], v[64:67]// 000000005590: D3E10040 1D02D994
	v_mfma_f32_16x16x16_bf16 v[64:67], a[150:151], a[110:111], v[64:67]// 000000005598: D3E10040 1D02DD96
	v_mfma_f32_16x16x16_bf16 v[68:71], a[144:145], a[112:113], v[68:71]// 0000000055A0: D3E10044 1D12E190
	v_mfma_f32_16x16x16_bf16 v[68:71], a[146:147], a[114:115], v[68:71]// 0000000055A8: D3E10044 1D12E592
	v_mfma_f32_16x16x16_bf16 v[68:71], a[148:149], a[116:117], v[68:71]// 0000000055B0: D3E10044 1D12E994
	v_mfma_f32_16x16x16_bf16 v[68:71], a[150:151], a[118:119], v[68:71]// 0000000055B8: D3E10044 1D12ED96
	v_mfma_f32_16x16x16_bf16 v[72:75], a[144:145], a[120:121], v[72:75]// 0000000055C0: D3E10048 1D22F190
	v_mfma_f32_16x16x16_bf16 v[72:75], a[146:147], a[122:123], v[72:75]// 0000000055C8: D3E10048 1D22F592
	v_mfma_f32_16x16x16_bf16 v[72:75], a[148:149], a[124:125], v[72:75]// 0000000055D0: D3E10048 1D22F994
	v_mfma_f32_16x16x16_bf16 v[72:75], a[150:151], a[126:127], v[72:75]// 0000000055D8: D3E10048 1D22FD96
	s_addk_i32 s33, 0x40                                       // 0000000055E0: B7210040
	s_cmp_lt_i32 s33, s34                                      // 0000000055E4: BF042221
	s_cbranch_scc0 label_0B3C                                  // 0000000055E8: BF840001
	s_branch label_0703                                        // 0000000055EC: BF82FBC7

00000000000055f0 <label_0B3C>:
	s_cmp_le_u32 s48, 1                                        // 0000000055F0: BF0B8130
	s_cbranch_scc1 label_1178                                  // 0000000055F4: BF85063A
	s_mov_b32 s31, 0x80                                        // 0000000055F8: BE9F00FF 00000080
	s_cmp_lt_u32 s51, s31                                      // 000000005600: BF0A1F33
	s_cbranch_scc1 label_0D9F                                  // 000000005604: BF85025D
	v_mov_b32_e32 v5, 0                                        // 000000005608: 7E0A0280
	s_and_b32 s17, s17, 0xffff                                 // 00000000560C: 8611FF11 0000FFFF
	s_cmp_lt_u32 s50, 1                                        // 000000005614: BF0A8132
	s_cbranch_scc0 label_0C32                                  // 000000005618: BF8400EB
	v_lshrrev_b32_e32 v4, 4, v0                                // 00000000561C: 20080084
	v_mul_u32_u24_e32 v37, 0x44, v4                            // 000000005620: 104A08FF 00000044
	v_and_b32_e32 v4, 15, v0                                   // 000000005628: 2608008F
	v_mul_lo_u32 v5, 4, v4                                     // 00000000562C: D2850005 00020884
	v_add_u32_e32 v37, v5, v37                                 // 000000005634: 684A4B05
	s_mul_i32 s31, s24, 0x110                                  // 000000005638: 921FFF18 00000110
	v_add_u32_e32 v37, s31, v37                                // 000000005640: 684A4A1F
	v_lshlrev_b32_e32 v37, 2, v37                              // 000000005644: 244A4A82
	v_lshrrev_b32_e32 v4, 2, v0                                // 000000005648: 20080082
	v_mul_u32_u24_e32 v40, 0x44, v4                            // 00000000564C: 105008FF 00000044
	v_and_b32_e32 v4, 3, v0                                    // 000000005654: 26080083
	v_add_u32_e32 v40, v4, v40                                 // 000000005658: 68505104
	s_mul_i32 s31, s24, 4                                      // 00000000565C: 921F8418
	v_add_u32_e32 v40, s31, v40                                // 000000005660: 6850501F
	v_lshlrev_b32_e32 v40, 2, v40                              // 000000005664: 24505082
	s_waitcnt vmcnt(0) expcnt(0) lgkmcnt(0)                    // 000000005668: BF8C0000
	s_barrier                                                  // 00000000566C: BF8A0000
	ds_write_b128 v37, v[44:47]                                // 000000005670: D9BE0000 00002C25
	ds_write_b128 v37, v[48:51] offset:4352                    // 000000005678: D9BE1100 00003025
	ds_write_b128 v37, v[52:55] offset:8704                    // 000000005680: D9BE2200 00003425
	ds_write_b128 v37, v[56:59] offset:13056                   // 000000005688: D9BE3300 00003825
	ds_write_b128 v37, v[60:63] offset:17408                   // 000000005690: D9BE4400 00003C25
	ds_write_b128 v37, v[64:67] offset:21760                   // 000000005698: D9BE5500 00004025
	ds_write_b128 v37, v[68:71] offset:26112                   // 0000000056A0: D9BE6600 00004425
	ds_write_b128 v37, v[72:75] offset:30464                   // 0000000056A8: D9BE7700 00004825
	s_waitcnt lgkmcnt(0)                                       // 0000000056B0: BF8CC07F
	s_barrier                                                  // 0000000056B4: BF8A0000
	ds_read_b32 v44, v40                                       // 0000000056B8: D86C0000 2C000028
	ds_read_b32 v45, v40 offset:64                             // 0000000056C0: D86C0040 2D000028
	ds_read_b32 v46, v40 offset:128                            // 0000000056C8: D86C0080 2E000028
	ds_read_b32 v47, v40 offset:192                            // 0000000056D0: D86C00C0 2F000028
	ds_read_b32 v48, v40 offset:4352                           // 0000000056D8: D86C1100 30000028
	ds_read_b32 v49, v40 offset:4416                           // 0000000056E0: D86C1140 31000028
	ds_read_b32 v50, v40 offset:4480                           // 0000000056E8: D86C1180 32000028
	ds_read_b32 v51, v40 offset:4544                           // 0000000056F0: D86C11C0 33000028
	ds_read_b32 v52, v40 offset:8704                           // 0000000056F8: D86C2200 34000028
	ds_read_b32 v53, v40 offset:8768                           // 000000005700: D86C2240 35000028
	ds_read_b32 v54, v40 offset:8832                           // 000000005708: D86C2280 36000028
	ds_read_b32 v55, v40 offset:8896                           // 000000005710: D86C22C0 37000028
	ds_read_b32 v56, v40 offset:13056                          // 000000005718: D86C3300 38000028
	ds_read_b32 v57, v40 offset:13120                          // 000000005720: D86C3340 39000028
	ds_read_b32 v58, v40 offset:13184                          // 000000005728: D86C3380 3A000028
	ds_read_b32 v59, v40 offset:13248                          // 000000005730: D86C33C0 3B000028
	ds_read_b32 v60, v40 offset:17408                          // 000000005738: D86C4400 3C000028
	ds_read_b32 v61, v40 offset:17472                          // 000000005740: D86C4440 3D000028
	ds_read_b32 v62, v40 offset:17536                          // 000000005748: D86C4480 3E000028
	ds_read_b32 v63, v40 offset:17600                          // 000000005750: D86C44C0 3F000028
	ds_read_b32 v64, v40 offset:21760                          // 000000005758: D86C5500 40000028
	ds_read_b32 v65, v40 offset:21824                          // 000000005760: D86C5540 41000028
	ds_read_b32 v66, v40 offset:21888                          // 000000005768: D86C5580 42000028
	ds_read_b32 v67, v40 offset:21952                          // 000000005770: D86C55C0 43000028
	ds_read_b32 v68, v40 offset:26112                          // 000000005778: D86C6600 44000028
	ds_read_b32 v69, v40 offset:26176                          // 000000005780: D86C6640 45000028
	ds_read_b32 v70, v40 offset:26240                          // 000000005788: D86C6680 46000028
	ds_read_b32 v71, v40 offset:26304                          // 000000005790: D86C66C0 47000028
	ds_read_b32 v72, v40 offset:30464                          // 000000005798: D86C7700 48000028
	ds_read_b32 v73, v40 offset:30528                          // 0000000057A0: D86C7740 49000028
	ds_read_b32 v74, v40 offset:30592                          // 0000000057A8: D86C7780 4A000028
	ds_read_b32 v75, v40 offset:30656                          // 0000000057B0: D86C77C0 4B000028
	s_waitcnt lgkmcnt(0)                                       // 0000000057B8: BF8CC07F
	s_mul_i32 s31, s30, 4                                      // 0000000057BC: 921F841E
	v_mov_b32_e32 v4, v20                                      // 0000000057C0: 7E080314
	global_atomic_add_f32 v4, v44, s[16:17]                    // 0000000057C4: DD348000 00102C04
	v_add_u32_e64 v4, v4, s31                                  // 0000000057CC: D1340004 00003F04
	global_atomic_add_f32 v4, v45, s[16:17]                    // 0000000057D4: DD348000 00102D04
	v_add_u32_e64 v4, v4, s31                                  // 0000000057DC: D1340004 00003F04
	global_atomic_add_f32 v4, v46, s[16:17]                    // 0000000057E4: DD348000 00102E04
	v_add_u32_e64 v4, v4, s31                                  // 0000000057EC: D1340004 00003F04
	global_atomic_add_f32 v4, v47, s[16:17]                    // 0000000057F4: DD348000 00102F04
	v_add_u32_e64 v4, v4, s31                                  // 0000000057FC: D1340004 00003F04
	global_atomic_add_f32 v4, v48, s[16:17]                    // 000000005804: DD348000 00103004
	v_add_u32_e64 v4, v4, s31                                  // 00000000580C: D1340004 00003F04
	global_atomic_add_f32 v4, v49, s[16:17]                    // 000000005814: DD348000 00103104
	v_add_u32_e64 v4, v4, s31                                  // 00000000581C: D1340004 00003F04
	global_atomic_add_f32 v4, v50, s[16:17]                    // 000000005824: DD348000 00103204
	v_add_u32_e64 v4, v4, s31                                  // 00000000582C: D1340004 00003F04
	global_atomic_add_f32 v4, v51, s[16:17]                    // 000000005834: DD348000 00103304
	v_add_u32_e64 v4, v4, s31                                  // 00000000583C: D1340004 00003F04
	global_atomic_add_f32 v4, v52, s[16:17]                    // 000000005844: DD348000 00103404
	v_add_u32_e64 v4, v4, s31                                  // 00000000584C: D1340004 00003F04
	global_atomic_add_f32 v4, v53, s[16:17]                    // 000000005854: DD348000 00103504
	v_add_u32_e64 v4, v4, s31                                  // 00000000585C: D1340004 00003F04
	global_atomic_add_f32 v4, v54, s[16:17]                    // 000000005864: DD348000 00103604
	v_add_u32_e64 v4, v4, s31                                  // 00000000586C: D1340004 00003F04
	global_atomic_add_f32 v4, v55, s[16:17]                    // 000000005874: DD348000 00103704
	v_add_u32_e64 v4, v4, s31                                  // 00000000587C: D1340004 00003F04
	global_atomic_add_f32 v4, v56, s[16:17]                    // 000000005884: DD348000 00103804
	v_add_u32_e64 v4, v4, s31                                  // 00000000588C: D1340004 00003F04
	global_atomic_add_f32 v4, v57, s[16:17]                    // 000000005894: DD348000 00103904
	v_add_u32_e64 v4, v4, s31                                  // 00000000589C: D1340004 00003F04
	global_atomic_add_f32 v4, v58, s[16:17]                    // 0000000058A4: DD348000 00103A04
	v_add_u32_e64 v4, v4, s31                                  // 0000000058AC: D1340004 00003F04
	global_atomic_add_f32 v4, v59, s[16:17]                    // 0000000058B4: DD348000 00103B04
	v_add_u32_e64 v4, v4, s31                                  // 0000000058BC: D1340004 00003F04
	global_atomic_add_f32 v4, v60, s[16:17]                    // 0000000058C4: DD348000 00103C04
	v_add_u32_e64 v4, v4, s31                                  // 0000000058CC: D1340004 00003F04
	global_atomic_add_f32 v4, v61, s[16:17]                    // 0000000058D4: DD348000 00103D04
	v_add_u32_e64 v4, v4, s31                                  // 0000000058DC: D1340004 00003F04
	global_atomic_add_f32 v4, v62, s[16:17]                    // 0000000058E4: DD348000 00103E04
	v_add_u32_e64 v4, v4, s31                                  // 0000000058EC: D1340004 00003F04
	global_atomic_add_f32 v4, v63, s[16:17]                    // 0000000058F4: DD348000 00103F04
	v_add_u32_e64 v4, v4, s31                                  // 0000000058FC: D1340004 00003F04
	global_atomic_add_f32 v4, v64, s[16:17]                    // 000000005904: DD348000 00104004
	v_add_u32_e64 v4, v4, s31                                  // 00000000590C: D1340004 00003F04
	global_atomic_add_f32 v4, v65, s[16:17]                    // 000000005914: DD348000 00104104
	v_add_u32_e64 v4, v4, s31                                  // 00000000591C: D1340004 00003F04
	global_atomic_add_f32 v4, v66, s[16:17]                    // 000000005924: DD348000 00104204
	v_add_u32_e64 v4, v4, s31                                  // 00000000592C: D1340004 00003F04
	global_atomic_add_f32 v4, v67, s[16:17]                    // 000000005934: DD348000 00104304
	v_add_u32_e64 v4, v4, s31                                  // 00000000593C: D1340004 00003F04
	global_atomic_add_f32 v4, v68, s[16:17]                    // 000000005944: DD348000 00104404
	v_add_u32_e64 v4, v4, s31                                  // 00000000594C: D1340004 00003F04
	global_atomic_add_f32 v4, v69, s[16:17]                    // 000000005954: DD348000 00104504
	v_add_u32_e64 v4, v4, s31                                  // 00000000595C: D1340004 00003F04
	global_atomic_add_f32 v4, v70, s[16:17]                    // 000000005964: DD348000 00104604
	v_add_u32_e64 v4, v4, s31                                  // 00000000596C: D1340004 00003F04
	global_atomic_add_f32 v4, v71, s[16:17]                    // 000000005974: DD348000 00104704
	v_add_u32_e64 v4, v4, s31                                  // 00000000597C: D1340004 00003F04
	global_atomic_add_f32 v4, v72, s[16:17]                    // 000000005984: DD348000 00104804
	v_add_u32_e64 v4, v4, s31                                  // 00000000598C: D1340004 00003F04
	global_atomic_add_f32 v4, v73, s[16:17]                    // 000000005994: DD348000 00104904
	v_add_u32_e64 v4, v4, s31                                  // 00000000599C: D1340004 00003F04
	global_atomic_add_f32 v4, v74, s[16:17]                    // 0000000059A4: DD348000 00104A04
	v_add_u32_e64 v4, v4, s31                                  // 0000000059AC: D1340004 00003F04
	global_atomic_add_f32 v4, v75, s[16:17]                    // 0000000059B4: DD348000 00104B04
	v_add_u32_e64 v4, v4, s31                                  // 0000000059BC: D1340004 00003F04
	s_branch label_127B                                        // 0000000059C4: BF820649

00000000000059c8 <label_0C32>:
	v_lshrrev_b32_e32 v4, 4, v0                                // 0000000059C8: 20080084
	v_mul_u32_u24_e32 v37, 34, v4                              // 0000000059CC: 104A08A2
	v_and_b32_e32 v4, 15, v0                                   // 0000000059D0: 2608008F
	v_mul_lo_u32 v5, 2, v4                                     // 0000000059D4: D2850005 00020882
	v_add_u32_e32 v37, v5, v37                                 // 0000000059DC: 684A4B05
	s_mul_i32 s31, s24, 0x88                                   // 0000000059E0: 921FFF18 00000088
	v_add_u32_e32 v37, s31, v37                                // 0000000059E8: 684A4A1F
	v_lshlrev_b32_e32 v37, 2, v37                              // 0000000059EC: 244A4A82
	v_and_b32_e32 v4, 31, v0                                   // 0000000059F0: 2608009F
	v_lshrrev_b32_e32 v5, 1, v4                                // 0000000059F4: 200A0881
	v_mul_u32_u24_e32 v40, 34, v5                              // 0000000059F8: 10500AA2
	v_and_b32_e32 v5, 1, v4                                    // 0000000059FC: 260A0881
	v_add_u32_e32 v40, v5, v40                                 // 000000005A00: 68505105
	v_lshrrev_b32_e32 v4, 5, v0                                // 000000005A04: 20080085
	v_mul_u32_u24_e32 v4, 8, v4                                // 000000005A08: 10080888
	v_add_u32_e32 v40, v4, v40                                 // 000000005A0C: 68505104
	s_mul_i32 s31, s24, 2                                      // 000000005A10: 921F8218
	v_add_u32_e32 v40, s31, v40                                // 000000005A14: 6850501F
	v_lshlrev_b32_e32 v40, 2, v40                              // 000000005A18: 24505082
	s_waitcnt vmcnt(0) expcnt(0) lgkmcnt(0)                    // 000000005A1C: BF8C0000
	s_barrier                                                  // 000000005A20: BF8A0000
	v_cmp_u_f32_e64 s[56:57], v44, v44                         // 000000005A24: D0480038 0002592C
	v_add3_u32 v8, v44, v11, 1                                 // 000000005A2C: D1FF0008 0206172C
	v_cndmask_b32_e64 v4, v8, v10, s[56:57]                    // 000000005A34: D1000004 00E21508
	v_cmp_u_f32_e64 s[56:57], v45, v45                         // 000000005A3C: D0480038 00025B2D
	v_add3_u32 v8, v45, v11, 1                                 // 000000005A44: D1FF0008 0206172D
	v_cndmask_b32_e64 v5, v8, v10, s[56:57]                    // 000000005A4C: D1000005 00E21508
	v_perm_b32 v76, v5, v4, s35                                // 000000005A54: D1ED004C 008E0905
	v_cmp_u_f32_e64 s[56:57], v46, v46                         // 000000005A5C: D0480038 00025D2E
	v_add3_u32 v8, v46, v11, 1                                 // 000000005A64: D1FF0008 0206172E
	v_cndmask_b32_e64 v4, v8, v10, s[56:57]                    // 000000005A6C: D1000004 00E21508
	v_cmp_u_f32_e64 s[56:57], v47, v47                         // 000000005A74: D0480038 00025F2F
	v_add3_u32 v8, v47, v11, 1                                 // 000000005A7C: D1FF0008 0206172F
	v_cndmask_b32_e64 v5, v8, v10, s[56:57]                    // 000000005A84: D1000005 00E21508
	v_perm_b32 v77, v5, v4, s35                                // 000000005A8C: D1ED004D 008E0905
	v_cmp_u_f32_e64 s[56:57], v48, v48                         // 000000005A94: D0480038 00026130
	v_add3_u32 v8, v48, v11, 1                                 // 000000005A9C: D1FF0008 02061730
	v_cndmask_b32_e64 v4, v8, v10, s[56:57]                    // 000000005AA4: D1000004 00E21508
	v_cmp_u_f32_e64 s[56:57], v49, v49                         // 000000005AAC: D0480038 00026331
	v_add3_u32 v8, v49, v11, 1                                 // 000000005AB4: D1FF0008 02061731
	v_cndmask_b32_e64 v5, v8, v10, s[56:57]                    // 000000005ABC: D1000005 00E21508
	v_perm_b32 v78, v5, v4, s35                                // 000000005AC4: D1ED004E 008E0905
	v_cmp_u_f32_e64 s[56:57], v50, v50                         // 000000005ACC: D0480038 00026532
	v_add3_u32 v8, v50, v11, 1                                 // 000000005AD4: D1FF0008 02061732
	v_cndmask_b32_e64 v4, v8, v10, s[56:57]                    // 000000005ADC: D1000004 00E21508
	v_cmp_u_f32_e64 s[56:57], v51, v51                         // 000000005AE4: D0480038 00026733
	v_add3_u32 v8, v51, v11, 1                                 // 000000005AEC: D1FF0008 02061733
	v_cndmask_b32_e64 v5, v8, v10, s[56:57]                    // 000000005AF4: D1000005 00E21508
	v_perm_b32 v79, v5, v4, s35                                // 000000005AFC: D1ED004F 008E0905
	v_cmp_u_f32_e64 s[56:57], v52, v52                         // 000000005B04: D0480038 00026934
	v_add3_u32 v8, v52, v11, 1                                 // 000000005B0C: D1FF0008 02061734
	v_cndmask_b32_e64 v4, v8, v10, s[56:57]                    // 000000005B14: D1000004 00E21508
	v_cmp_u_f32_e64 s[56:57], v53, v53                         // 000000005B1C: D0480038 00026B35
	v_add3_u32 v8, v53, v11, 1                                 // 000000005B24: D1FF0008 02061735
	v_cndmask_b32_e64 v5, v8, v10, s[56:57]                    // 000000005B2C: D1000005 00E21508
	v_perm_b32 v80, v5, v4, s35                                // 000000005B34: D1ED0050 008E0905
	v_cmp_u_f32_e64 s[56:57], v54, v54                         // 000000005B3C: D0480038 00026D36
	v_add3_u32 v8, v54, v11, 1                                 // 000000005B44: D1FF0008 02061736
	v_cndmask_b32_e64 v4, v8, v10, s[56:57]                    // 000000005B4C: D1000004 00E21508
	v_cmp_u_f32_e64 s[56:57], v55, v55                         // 000000005B54: D0480038 00026F37
	v_add3_u32 v8, v55, v11, 1                                 // 000000005B5C: D1FF0008 02061737
	v_cndmask_b32_e64 v5, v8, v10, s[56:57]                    // 000000005B64: D1000005 00E21508
	v_perm_b32 v81, v5, v4, s35                                // 000000005B6C: D1ED0051 008E0905
	v_cmp_u_f32_e64 s[56:57], v56, v56                         // 000000005B74: D0480038 00027138
	v_add3_u32 v8, v56, v11, 1                                 // 000000005B7C: D1FF0008 02061738
	v_cndmask_b32_e64 v4, v8, v10, s[56:57]                    // 000000005B84: D1000004 00E21508
	v_cmp_u_f32_e64 s[56:57], v57, v57                         // 000000005B8C: D0480038 00027339
	v_add3_u32 v8, v57, v11, 1                                 // 000000005B94: D1FF0008 02061739
	v_cndmask_b32_e64 v5, v8, v10, s[56:57]                    // 000000005B9C: D1000005 00E21508
	v_perm_b32 v82, v5, v4, s35                                // 000000005BA4: D1ED0052 008E0905
	v_cmp_u_f32_e64 s[56:57], v58, v58                         // 000000005BAC: D0480038 0002753A
	v_add3_u32 v8, v58, v11, 1                                 // 000000005BB4: D1FF0008 0206173A
	v_cndmask_b32_e64 v4, v8, v10, s[56:57]                    // 000000005BBC: D1000004 00E21508
	v_cmp_u_f32_e64 s[56:57], v59, v59                         // 000000005BC4: D0480038 0002773B
	v_add3_u32 v8, v59, v11, 1                                 // 000000005BCC: D1FF0008 0206173B
	v_cndmask_b32_e64 v5, v8, v10, s[56:57]                    // 000000005BD4: D1000005 00E21508
	v_perm_b32 v83, v5, v4, s35                                // 000000005BDC: D1ED0053 008E0905
	v_cmp_u_f32_e64 s[56:57], v60, v60                         // 000000005BE4: D0480038 0002793C
	v_add3_u32 v8, v60, v11, 1                                 // 000000005BEC: D1FF0008 0206173C
	v_cndmask_b32_e64 v4, v8, v10, s[56:57]                    // 000000005BF4: D1000004 00E21508
	v_cmp_u_f32_e64 s[56:57], v61, v61                         // 000000005BFC: D0480038 00027B3D
	v_add3_u32 v8, v61, v11, 1                                 // 000000005C04: D1FF0008 0206173D
	v_cndmask_b32_e64 v5, v8, v10, s[56:57]                    // 000000005C0C: D1000005 00E21508
	v_perm_b32 v84, v5, v4, s35                                // 000000005C14: D1ED0054 008E0905
	v_cmp_u_f32_e64 s[56:57], v62, v62                         // 000000005C1C: D0480038 00027D3E
	v_add3_u32 v8, v62, v11, 1                                 // 000000005C24: D1FF0008 0206173E
	v_cndmask_b32_e64 v4, v8, v10, s[56:57]                    // 000000005C2C: D1000004 00E21508
	v_cmp_u_f32_e64 s[56:57], v63, v63                         // 000000005C34: D0480038 00027F3F
	v_add3_u32 v8, v63, v11, 1                                 // 000000005C3C: D1FF0008 0206173F
	v_cndmask_b32_e64 v5, v8, v10, s[56:57]                    // 000000005C44: D1000005 00E21508
	v_perm_b32 v85, v5, v4, s35                                // 000000005C4C: D1ED0055 008E0905
	v_cmp_u_f32_e64 s[56:57], v64, v64                         // 000000005C54: D0480038 00028140
	v_add3_u32 v8, v64, v11, 1                                 // 000000005C5C: D1FF0008 02061740
	v_cndmask_b32_e64 v4, v8, v10, s[56:57]                    // 000000005C64: D1000004 00E21508
	v_cmp_u_f32_e64 s[56:57], v65, v65                         // 000000005C6C: D0480038 00028341
	v_add3_u32 v8, v65, v11, 1                                 // 000000005C74: D1FF0008 02061741
	v_cndmask_b32_e64 v5, v8, v10, s[56:57]                    // 000000005C7C: D1000005 00E21508
	v_perm_b32 v86, v5, v4, s35                                // 000000005C84: D1ED0056 008E0905
	v_cmp_u_f32_e64 s[56:57], v66, v66                         // 000000005C8C: D0480038 00028542
	v_add3_u32 v8, v66, v11, 1                                 // 000000005C94: D1FF0008 02061742
	v_cndmask_b32_e64 v4, v8, v10, s[56:57]                    // 000000005C9C: D1000004 00E21508
	v_cmp_u_f32_e64 s[56:57], v67, v67                         // 000000005CA4: D0480038 00028743
	v_add3_u32 v8, v67, v11, 1                                 // 000000005CAC: D1FF0008 02061743
	v_cndmask_b32_e64 v5, v8, v10, s[56:57]                    // 000000005CB4: D1000005 00E21508
	v_perm_b32 v87, v5, v4, s35                                // 000000005CBC: D1ED0057 008E0905
	v_cmp_u_f32_e64 s[56:57], v68, v68                         // 000000005CC4: D0480038 00028944
	v_add3_u32 v8, v68, v11, 1                                 // 000000005CCC: D1FF0008 02061744
	v_cndmask_b32_e64 v4, v8, v10, s[56:57]                    // 000000005CD4: D1000004 00E21508
	v_cmp_u_f32_e64 s[56:57], v69, v69                         // 000000005CDC: D0480038 00028B45
	v_add3_u32 v8, v69, v11, 1                                 // 000000005CE4: D1FF0008 02061745
	v_cndmask_b32_e64 v5, v8, v10, s[56:57]                    // 000000005CEC: D1000005 00E21508
	v_perm_b32 v88, v5, v4, s35                                // 000000005CF4: D1ED0058 008E0905
	v_cmp_u_f32_e64 s[56:57], v70, v70                         // 000000005CFC: D0480038 00028D46
	v_add3_u32 v8, v70, v11, 1                                 // 000000005D04: D1FF0008 02061746
	v_cndmask_b32_e64 v4, v8, v10, s[56:57]                    // 000000005D0C: D1000004 00E21508
	v_cmp_u_f32_e64 s[56:57], v71, v71                         // 000000005D14: D0480038 00028F47
	v_add3_u32 v8, v71, v11, 1                                 // 000000005D1C: D1FF0008 02061747
	v_cndmask_b32_e64 v5, v8, v10, s[56:57]                    // 000000005D24: D1000005 00E21508
	v_perm_b32 v89, v5, v4, s35                                // 000000005D2C: D1ED0059 008E0905
	v_cmp_u_f32_e64 s[56:57], v72, v72                         // 000000005D34: D0480038 00029148
	v_add3_u32 v8, v72, v11, 1                                 // 000000005D3C: D1FF0008 02061748
	v_cndmask_b32_e64 v4, v8, v10, s[56:57]                    // 000000005D44: D1000004 00E21508
	v_cmp_u_f32_e64 s[56:57], v73, v73                         // 000000005D4C: D0480038 00029349
	v_add3_u32 v8, v73, v11, 1                                 // 000000005D54: D1FF0008 02061749
	v_cndmask_b32_e64 v5, v8, v10, s[56:57]                    // 000000005D5C: D1000005 00E21508
	v_perm_b32 v90, v5, v4, s35                                // 000000005D64: D1ED005A 008E0905
	v_cmp_u_f32_e64 s[56:57], v74, v74                         // 000000005D6C: D0480038 0002954A
	v_add3_u32 v8, v74, v11, 1                                 // 000000005D74: D1FF0008 0206174A
	v_cndmask_b32_e64 v4, v8, v10, s[56:57]                    // 000000005D7C: D1000004 00E21508
	v_cmp_u_f32_e64 s[56:57], v75, v75                         // 000000005D84: D0480038 0002974B
	v_add3_u32 v8, v75, v11, 1                                 // 000000005D8C: D1FF0008 0206174B
	v_cndmask_b32_e64 v5, v8, v10, s[56:57]                    // 000000005D94: D1000005 00E21508
	v_perm_b32 v91, v5, v4, s35                                // 000000005D9C: D1ED005B 008E0905
	ds_write_b64 v37, v[76:77]                                 // 000000005DA4: D89A0000 00004C25
	ds_write_b64 v37, v[78:79] offset:2176                     // 000000005DAC: D89A0880 00004E25
	ds_write_b64 v37, v[80:81] offset:4352                     // 000000005DB4: D89A1100 00005025
	ds_write_b64 v37, v[82:83] offset:6528                     // 000000005DBC: D89A1980 00005225
	ds_write_b64 v37, v[84:85] offset:8704                     // 000000005DC4: D89A2200 00005425
	ds_write_b64 v37, v[86:87] offset:10880                    // 000000005DCC: D89A2A80 00005625
	ds_write_b64 v37, v[88:89] offset:13056                    // 000000005DD4: D89A3300 00005825
	ds_write_b64 v37, v[90:91] offset:15232                    // 000000005DDC: D89A3B80 00005A25
	s_waitcnt lgkmcnt(0)                                       // 000000005DE4: BF8CC07F
	s_barrier                                                  // 000000005DE8: BF8A0000
	ds_read_b32 v76, v40                                       // 000000005DEC: D86C0000 4C000028
	ds_read_b32 v77, v40 offset:64                             // 000000005DF4: D86C0040 4D000028
	ds_read_b32 v78, v40 offset:2176                           // 000000005DFC: D86C0880 4E000028
	ds_read_b32 v79, v40 offset:2240                           // 000000005E04: D86C08C0 4F000028
	ds_read_b32 v80, v40 offset:4352                           // 000000005E0C: D86C1100 50000028
	ds_read_b32 v81, v40 offset:4416                           // 000000005E14: D86C1140 51000028
	ds_read_b32 v82, v40 offset:6528                           // 000000005E1C: D86C1980 52000028
	ds_read_b32 v83, v40 offset:6592                           // 000000005E24: D86C19C0 53000028
	ds_read_b32 v84, v40 offset:8704                           // 000000005E2C: D86C2200 54000028
	ds_read_b32 v85, v40 offset:8768                           // 000000005E34: D86C2240 55000028
	ds_read_b32 v86, v40 offset:10880                          // 000000005E3C: D86C2A80 56000028
	ds_read_b32 v87, v40 offset:10944                          // 000000005E44: D86C2AC0 57000028
	ds_read_b32 v88, v40 offset:13056                          // 000000005E4C: D86C3300 58000028
	ds_read_b32 v89, v40 offset:13120                          // 000000005E54: D86C3340 59000028
	ds_read_b32 v90, v40 offset:15232                          // 000000005E5C: D86C3B80 5A000028
	ds_read_b32 v91, v40 offset:15296                          // 000000005E64: D86C3BC0 5B000028
	s_waitcnt lgkmcnt(0)                                       // 000000005E6C: BF8CC07F
	s_mul_i32 s31, s30, 8                                      // 000000005E70: 921F881E
	v_mov_b32_e32 v4, v20                                      // 000000005E74: 7E080314
	global_atomic_pk_add_bf16 v4, v76, s[16:17]                // 000000005E78: DD488000 00104C04
	v_add_u32_e64 v4, v4, s31                                  // 000000005E80: D1340004 00003F04
	global_atomic_pk_add_bf16 v4, v77, s[16:17]                // 000000005E88: DD488000 00104D04
	v_add_u32_e64 v4, v4, s31                                  // 000000005E90: D1340004 00003F04
	global_atomic_pk_add_bf16 v4, v78, s[16:17]                // 000000005E98: DD488000 00104E04
	v_add_u32_e64 v4, v4, s31                                  // 000000005EA0: D1340004 00003F04
	global_atomic_pk_add_bf16 v4, v79, s[16:17]                // 000000005EA8: DD488000 00104F04
	v_add_u32_e64 v4, v4, s31                                  // 000000005EB0: D1340004 00003F04
	global_atomic_pk_add_bf16 v4, v80, s[16:17]                // 000000005EB8: DD488000 00105004
	v_add_u32_e64 v4, v4, s31                                  // 000000005EC0: D1340004 00003F04
	global_atomic_pk_add_bf16 v4, v81, s[16:17]                // 000000005EC8: DD488000 00105104
	v_add_u32_e64 v4, v4, s31                                  // 000000005ED0: D1340004 00003F04
	global_atomic_pk_add_bf16 v4, v82, s[16:17]                // 000000005ED8: DD488000 00105204
	v_add_u32_e64 v4, v4, s31                                  // 000000005EE0: D1340004 00003F04
	global_atomic_pk_add_bf16 v4, v83, s[16:17]                // 000000005EE8: DD488000 00105304
	v_add_u32_e64 v4, v4, s31                                  // 000000005EF0: D1340004 00003F04
	global_atomic_pk_add_bf16 v4, v84, s[16:17]                // 000000005EF8: DD488000 00105404
	v_add_u32_e64 v4, v4, s31                                  // 000000005F00: D1340004 00003F04
	global_atomic_pk_add_bf16 v4, v85, s[16:17]                // 000000005F08: DD488000 00105504
	v_add_u32_e64 v4, v4, s31                                  // 000000005F10: D1340004 00003F04
	global_atomic_pk_add_bf16 v4, v86, s[16:17]                // 000000005F18: DD488000 00105604
	v_add_u32_e64 v4, v4, s31                                  // 000000005F20: D1340004 00003F04
	global_atomic_pk_add_bf16 v4, v87, s[16:17]                // 000000005F28: DD488000 00105704
	v_add_u32_e64 v4, v4, s31                                  // 000000005F30: D1340004 00003F04
	global_atomic_pk_add_bf16 v4, v88, s[16:17]                // 000000005F38: DD488000 00105804
	v_add_u32_e64 v4, v4, s31                                  // 000000005F40: D1340004 00003F04
	global_atomic_pk_add_bf16 v4, v89, s[16:17]                // 000000005F48: DD488000 00105904
	v_add_u32_e64 v4, v4, s31                                  // 000000005F50: D1340004 00003F04
	global_atomic_pk_add_bf16 v4, v90, s[16:17]                // 000000005F58: DD488000 00105A04
	v_add_u32_e64 v4, v4, s31                                  // 000000005F60: D1340004 00003F04
	global_atomic_pk_add_bf16 v4, v91, s[16:17]                // 000000005F68: DD488000 00105B04
	v_add_u32_e64 v4, v4, s31                                  // 000000005F70: D1340004 00003F04
	s_branch label_127B                                        // 000000005F78: BF8204DC

0000000000005f7c <label_0D9F>:
	v_mov_b32_e32 v5, 0                                        // 000000005F7C: 7E0A0280
	s_and_b32 s17, s17, 0xffff                                 // 000000005F80: 8611FF11 0000FFFF
	s_cmp_lt_u32 s50, 1                                        // 000000005F88: BF0A8132
	s_cbranch_scc0 label_0EF5                                  // 000000005F8C: BF840151
	v_lshrrev_b32_e32 v4, 4, v0                                // 000000005F90: 20080084
	v_mul_u32_u24_e32 v37, 0x44, v4                            // 000000005F94: 104A08FF 00000044
	v_and_b32_e32 v4, 15, v0                                   // 000000005F9C: 2608008F
	v_mul_lo_u32 v5, 4, v4                                     // 000000005FA0: D2850005 00020884
	v_add_u32_e32 v37, v5, v37                                 // 000000005FA8: 684A4B05
	s_mul_i32 s31, s24, 0x110                                  // 000000005FAC: 921FFF18 00000110
	v_add_u32_e32 v37, s31, v37                                // 000000005FB4: 684A4A1F
	v_lshlrev_b32_e32 v37, 2, v37                              // 000000005FB8: 244A4A82
	v_lshrrev_b32_e32 v4, 2, v0                                // 000000005FBC: 20080082
	v_mul_u32_u24_e32 v40, 0x44, v4                            // 000000005FC0: 105008FF 00000044
	v_and_b32_e32 v4, 3, v0                                    // 000000005FC8: 26080083
	v_add_u32_e32 v40, v4, v40                                 // 000000005FCC: 68505104
	s_mul_i32 s31, s24, 4                                      // 000000005FD0: 921F8418
	v_add_u32_e32 v40, s31, v40                                // 000000005FD4: 6850501F
	v_lshlrev_b32_e32 v40, 2, v40                              // 000000005FD8: 24505082
	s_lshr_b32 s31, s51, 2                                     // 000000005FDC: 8F1F8233
	s_and_b32 s32, s51, 3                                      // 000000005FE0: 86208333
	s_cmp_lt_u32 s24, s32                                      // 000000005FE4: BF0A2018
	s_cselect_b32 s32, 1, 0                                    // 000000005FE8: 85208081
	s_add_u32 s51, s31, s32                                    // 000000005FEC: 8033201F
	s_mov_b32 s33, 0                                           // 000000005FF0: BEA10080
	s_waitcnt vmcnt(0) expcnt(0) lgkmcnt(0)                    // 000000005FF4: BF8C0000
	s_barrier                                                  // 000000005FF8: BF8A0000
	ds_write_b128 v37, v[44:47]                                // 000000005FFC: D9BE0000 00002C25
	ds_write_b128 v37, v[48:51] offset:4352                    // 000000006004: D9BE1100 00003025
	ds_write_b128 v37, v[52:55] offset:8704                    // 00000000600C: D9BE2200 00003425
	ds_write_b128 v37, v[56:59] offset:13056                   // 000000006014: D9BE3300 00003825
	ds_write_b128 v37, v[60:63] offset:17408                   // 00000000601C: D9BE4400 00003C25
	ds_write_b128 v37, v[64:67] offset:21760                   // 000000006024: D9BE5500 00004025
	ds_write_b128 v37, v[68:71] offset:26112                   // 00000000602C: D9BE6600 00004425
	ds_write_b128 v37, v[72:75] offset:30464                   // 000000006034: D9BE7700 00004825
	s_waitcnt lgkmcnt(0)                                       // 00000000603C: BF8CC07F
	s_barrier                                                  // 000000006040: BF8A0000
	ds_read_b32 v44, v40                                       // 000000006044: D86C0000 2C000028
	ds_read_b32 v45, v40 offset:64                             // 00000000604C: D86C0040 2D000028
	ds_read_b32 v46, v40 offset:128                            // 000000006054: D86C0080 2E000028
	ds_read_b32 v47, v40 offset:192                            // 00000000605C: D86C00C0 2F000028
	ds_read_b32 v48, v40 offset:4352                           // 000000006064: D86C1100 30000028
	ds_read_b32 v49, v40 offset:4416                           // 00000000606C: D86C1140 31000028
	ds_read_b32 v50, v40 offset:4480                           // 000000006074: D86C1180 32000028
	ds_read_b32 v51, v40 offset:4544                           // 00000000607C: D86C11C0 33000028
	ds_read_b32 v52, v40 offset:8704                           // 000000006084: D86C2200 34000028
	ds_read_b32 v53, v40 offset:8768                           // 00000000608C: D86C2240 35000028
	ds_read_b32 v54, v40 offset:8832                           // 000000006094: D86C2280 36000028
	ds_read_b32 v55, v40 offset:8896                           // 00000000609C: D86C22C0 37000028
	ds_read_b32 v56, v40 offset:13056                          // 0000000060A4: D86C3300 38000028
	ds_read_b32 v57, v40 offset:13120                          // 0000000060AC: D86C3340 39000028
	ds_read_b32 v58, v40 offset:13184                          // 0000000060B4: D86C3380 3A000028
	ds_read_b32 v59, v40 offset:13248                          // 0000000060BC: D86C33C0 3B000028
	ds_read_b32 v60, v40 offset:17408                          // 0000000060C4: D86C4400 3C000028
	ds_read_b32 v61, v40 offset:17472                          // 0000000060CC: D86C4440 3D000028
	ds_read_b32 v62, v40 offset:17536                          // 0000000060D4: D86C4480 3E000028
	ds_read_b32 v63, v40 offset:17600                          // 0000000060DC: D86C44C0 3F000028
	ds_read_b32 v64, v40 offset:21760                          // 0000000060E4: D86C5500 40000028
	ds_read_b32 v65, v40 offset:21824                          // 0000000060EC: D86C5540 41000028
	ds_read_b32 v66, v40 offset:21888                          // 0000000060F4: D86C5580 42000028
	ds_read_b32 v67, v40 offset:21952                          // 0000000060FC: D86C55C0 43000028
	ds_read_b32 v68, v40 offset:26112                          // 000000006104: D86C6600 44000028
	ds_read_b32 v69, v40 offset:26176                          // 00000000610C: D86C6640 45000028
	ds_read_b32 v70, v40 offset:26240                          // 000000006114: D86C6680 46000028
	ds_read_b32 v71, v40 offset:26304                          // 00000000611C: D86C66C0 47000028
	ds_read_b32 v72, v40 offset:30464                          // 000000006124: D86C7700 48000028
	ds_read_b32 v73, v40 offset:30528                          // 00000000612C: D86C7740 49000028
	ds_read_b32 v74, v40 offset:30592                          // 000000006134: D86C7780 4A000028
	ds_read_b32 v75, v40 offset:30656                          // 00000000613C: D86C77C0 4B000028
	s_waitcnt lgkmcnt(0)                                       // 000000006144: BF8CC07F
	s_mul_i32 s31, s30, 4                                      // 000000006148: 921F841E
	v_mov_b32_e32 v4, v20                                      // 00000000614C: 7E080314
	s_cmp_lt_i32 s33, s51                                      // 000000006150: BF043321
	s_cbranch_scc0 label_127B                                  // 000000006154: BF840465
	global_atomic_add_f32 v4, v44, s[16:17]                    // 000000006158: DD348000 00102C04
	v_add_u32_e64 v4, v4, s31                                  // 000000006160: D1340004 00003F04
	s_addk_i32 s33, 0x1                                        // 000000006168: B7210001
	s_cmp_lt_i32 s33, s51                                      // 00000000616C: BF043321
	s_cbranch_scc0 label_127B                                  // 000000006170: BF84045E
	global_atomic_add_f32 v4, v45, s[16:17]                    // 000000006174: DD348000 00102D04
	v_add_u32_e64 v4, v4, s31                                  // 00000000617C: D1340004 00003F04
	s_addk_i32 s33, 0x1                                        // 000000006184: B7210001
	s_cmp_lt_i32 s33, s51                                      // 000000006188: BF043321
	s_cbranch_scc0 label_127B                                  // 00000000618C: BF840457
	global_atomic_add_f32 v4, v46, s[16:17]                    // 000000006190: DD348000 00102E04
	v_add_u32_e64 v4, v4, s31                                  // 000000006198: D1340004 00003F04
	s_addk_i32 s33, 0x1                                        // 0000000061A0: B7210001
	s_cmp_lt_i32 s33, s51                                      // 0000000061A4: BF043321
	s_cbranch_scc0 label_127B                                  // 0000000061A8: BF840450
	global_atomic_add_f32 v4, v47, s[16:17]                    // 0000000061AC: DD348000 00102F04
	v_add_u32_e64 v4, v4, s31                                  // 0000000061B4: D1340004 00003F04
	s_addk_i32 s33, 0x1                                        // 0000000061BC: B7210001
	s_cmp_lt_i32 s33, s51                                      // 0000000061C0: BF043321
	s_cbranch_scc0 label_127B                                  // 0000000061C4: BF840449
	global_atomic_add_f32 v4, v48, s[16:17]                    // 0000000061C8: DD348000 00103004
	v_add_u32_e64 v4, v4, s31                                  // 0000000061D0: D1340004 00003F04
	s_addk_i32 s33, 0x1                                        // 0000000061D8: B7210001
	s_cmp_lt_i32 s33, s51                                      // 0000000061DC: BF043321
	s_cbranch_scc0 label_127B                                  // 0000000061E0: BF840442
	global_atomic_add_f32 v4, v49, s[16:17]                    // 0000000061E4: DD348000 00103104
	v_add_u32_e64 v4, v4, s31                                  // 0000000061EC: D1340004 00003F04
	s_addk_i32 s33, 0x1                                        // 0000000061F4: B7210001
	s_cmp_lt_i32 s33, s51                                      // 0000000061F8: BF043321
	s_cbranch_scc0 label_127B                                  // 0000000061FC: BF84043B
	global_atomic_add_f32 v4, v50, s[16:17]                    // 000000006200: DD348000 00103204
	v_add_u32_e64 v4, v4, s31                                  // 000000006208: D1340004 00003F04
	s_addk_i32 s33, 0x1                                        // 000000006210: B7210001
	s_cmp_lt_i32 s33, s51                                      // 000000006214: BF043321
	s_cbranch_scc0 label_127B                                  // 000000006218: BF840434
	global_atomic_add_f32 v4, v51, s[16:17]                    // 00000000621C: DD348000 00103304
	v_add_u32_e64 v4, v4, s31                                  // 000000006224: D1340004 00003F04
	s_addk_i32 s33, 0x1                                        // 00000000622C: B7210001
	s_cmp_lt_i32 s33, s51                                      // 000000006230: BF043321
	s_cbranch_scc0 label_127B                                  // 000000006234: BF84042D
	global_atomic_add_f32 v4, v52, s[16:17]                    // 000000006238: DD348000 00103404
	v_add_u32_e64 v4, v4, s31                                  // 000000006240: D1340004 00003F04
	s_addk_i32 s33, 0x1                                        // 000000006248: B7210001
	s_cmp_lt_i32 s33, s51                                      // 00000000624C: BF043321
	s_cbranch_scc0 label_127B                                  // 000000006250: BF840426
	global_atomic_add_f32 v4, v53, s[16:17]                    // 000000006254: DD348000 00103504
	v_add_u32_e64 v4, v4, s31                                  // 00000000625C: D1340004 00003F04
	s_addk_i32 s33, 0x1                                        // 000000006264: B7210001
	s_cmp_lt_i32 s33, s51                                      // 000000006268: BF043321
	s_cbranch_scc0 label_127B                                  // 00000000626C: BF84041F
	global_atomic_add_f32 v4, v54, s[16:17]                    // 000000006270: DD348000 00103604
	v_add_u32_e64 v4, v4, s31                                  // 000000006278: D1340004 00003F04
	s_addk_i32 s33, 0x1                                        // 000000006280: B7210001
	s_cmp_lt_i32 s33, s51                                      // 000000006284: BF043321
	s_cbranch_scc0 label_127B                                  // 000000006288: BF840418
	global_atomic_add_f32 v4, v55, s[16:17]                    // 00000000628C: DD348000 00103704
	v_add_u32_e64 v4, v4, s31                                  // 000000006294: D1340004 00003F04
	s_addk_i32 s33, 0x1                                        // 00000000629C: B7210001
	s_cmp_lt_i32 s33, s51                                      // 0000000062A0: BF043321
	s_cbranch_scc0 label_127B                                  // 0000000062A4: BF840411
	global_atomic_add_f32 v4, v56, s[16:17]                    // 0000000062A8: DD348000 00103804
	v_add_u32_e64 v4, v4, s31                                  // 0000000062B0: D1340004 00003F04
	s_addk_i32 s33, 0x1                                        // 0000000062B8: B7210001
	s_cmp_lt_i32 s33, s51                                      // 0000000062BC: BF043321
	s_cbranch_scc0 label_127B                                  // 0000000062C0: BF84040A
	global_atomic_add_f32 v4, v57, s[16:17]                    // 0000000062C4: DD348000 00103904
	v_add_u32_e64 v4, v4, s31                                  // 0000000062CC: D1340004 00003F04
	s_addk_i32 s33, 0x1                                        // 0000000062D4: B7210001
	s_cmp_lt_i32 s33, s51                                      // 0000000062D8: BF043321
	s_cbranch_scc0 label_127B                                  // 0000000062DC: BF840403
	global_atomic_add_f32 v4, v58, s[16:17]                    // 0000000062E0: DD348000 00103A04
	v_add_u32_e64 v4, v4, s31                                  // 0000000062E8: D1340004 00003F04
	s_addk_i32 s33, 0x1                                        // 0000000062F0: B7210001
	s_cmp_lt_i32 s33, s51                                      // 0000000062F4: BF043321
	s_cbranch_scc0 label_127B                                  // 0000000062F8: BF8403FC
	global_atomic_add_f32 v4, v59, s[16:17]                    // 0000000062FC: DD348000 00103B04
	v_add_u32_e64 v4, v4, s31                                  // 000000006304: D1340004 00003F04
	s_addk_i32 s33, 0x1                                        // 00000000630C: B7210001
	s_cmp_lt_i32 s33, s51                                      // 000000006310: BF043321
	s_cbranch_scc0 label_127B                                  // 000000006314: BF8403F5
	global_atomic_add_f32 v4, v60, s[16:17]                    // 000000006318: DD348000 00103C04
	v_add_u32_e64 v4, v4, s31                                  // 000000006320: D1340004 00003F04
	s_addk_i32 s33, 0x1                                        // 000000006328: B7210001
	s_cmp_lt_i32 s33, s51                                      // 00000000632C: BF043321
	s_cbranch_scc0 label_127B                                  // 000000006330: BF8403EE
	global_atomic_add_f32 v4, v61, s[16:17]                    // 000000006334: DD348000 00103D04
	v_add_u32_e64 v4, v4, s31                                  // 00000000633C: D1340004 00003F04
	s_addk_i32 s33, 0x1                                        // 000000006344: B7210001
	s_cmp_lt_i32 s33, s51                                      // 000000006348: BF043321
	s_cbranch_scc0 label_127B                                  // 00000000634C: BF8403E7
	global_atomic_add_f32 v4, v62, s[16:17]                    // 000000006350: DD348000 00103E04
	v_add_u32_e64 v4, v4, s31                                  // 000000006358: D1340004 00003F04
	s_addk_i32 s33, 0x1                                        // 000000006360: B7210001
	s_cmp_lt_i32 s33, s51                                      // 000000006364: BF043321
	s_cbranch_scc0 label_127B                                  // 000000006368: BF8403E0
	global_atomic_add_f32 v4, v63, s[16:17]                    // 00000000636C: DD348000 00103F04
	v_add_u32_e64 v4, v4, s31                                  // 000000006374: D1340004 00003F04
	s_addk_i32 s33, 0x1                                        // 00000000637C: B7210001
	s_cmp_lt_i32 s33, s51                                      // 000000006380: BF043321
	s_cbranch_scc0 label_127B                                  // 000000006384: BF8403D9
	global_atomic_add_f32 v4, v64, s[16:17]                    // 000000006388: DD348000 00104004
	v_add_u32_e64 v4, v4, s31                                  // 000000006390: D1340004 00003F04
	s_addk_i32 s33, 0x1                                        // 000000006398: B7210001
	s_cmp_lt_i32 s33, s51                                      // 00000000639C: BF043321
	s_cbranch_scc0 label_127B                                  // 0000000063A0: BF8403D2
	global_atomic_add_f32 v4, v65, s[16:17]                    // 0000000063A4: DD348000 00104104
	v_add_u32_e64 v4, v4, s31                                  // 0000000063AC: D1340004 00003F04
	s_addk_i32 s33, 0x1                                        // 0000000063B4: B7210001
	s_cmp_lt_i32 s33, s51                                      // 0000000063B8: BF043321
	s_cbranch_scc0 label_127B                                  // 0000000063BC: BF8403CB
	global_atomic_add_f32 v4, v66, s[16:17]                    // 0000000063C0: DD348000 00104204
	v_add_u32_e64 v4, v4, s31                                  // 0000000063C8: D1340004 00003F04
	s_addk_i32 s33, 0x1                                        // 0000000063D0: B7210001
	s_cmp_lt_i32 s33, s51                                      // 0000000063D4: BF043321
	s_cbranch_scc0 label_127B                                  // 0000000063D8: BF8403C4
	global_atomic_add_f32 v4, v67, s[16:17]                    // 0000000063DC: DD348000 00104304
	v_add_u32_e64 v4, v4, s31                                  // 0000000063E4: D1340004 00003F04
	s_addk_i32 s33, 0x1                                        // 0000000063EC: B7210001
	s_cmp_lt_i32 s33, s51                                      // 0000000063F0: BF043321
	s_cbranch_scc0 label_127B                                  // 0000000063F4: BF8403BD
	global_atomic_add_f32 v4, v68, s[16:17]                    // 0000000063F8: DD348000 00104404
	v_add_u32_e64 v4, v4, s31                                  // 000000006400: D1340004 00003F04
	s_addk_i32 s33, 0x1                                        // 000000006408: B7210001
	s_cmp_lt_i32 s33, s51                                      // 00000000640C: BF043321
	s_cbranch_scc0 label_127B                                  // 000000006410: BF8403B6
	global_atomic_add_f32 v4, v69, s[16:17]                    // 000000006414: DD348000 00104504
	v_add_u32_e64 v4, v4, s31                                  // 00000000641C: D1340004 00003F04
	s_addk_i32 s33, 0x1                                        // 000000006424: B7210001
	s_cmp_lt_i32 s33, s51                                      // 000000006428: BF043321
	s_cbranch_scc0 label_127B                                  // 00000000642C: BF8403AF
	global_atomic_add_f32 v4, v70, s[16:17]                    // 000000006430: DD348000 00104604
	v_add_u32_e64 v4, v4, s31                                  // 000000006438: D1340004 00003F04
	s_addk_i32 s33, 0x1                                        // 000000006440: B7210001
	s_cmp_lt_i32 s33, s51                                      // 000000006444: BF043321
	s_cbranch_scc0 label_127B                                  // 000000006448: BF8403A8
	global_atomic_add_f32 v4, v71, s[16:17]                    // 00000000644C: DD348000 00104704
	v_add_u32_e64 v4, v4, s31                                  // 000000006454: D1340004 00003F04
	s_addk_i32 s33, 0x1                                        // 00000000645C: B7210001
	s_cmp_lt_i32 s33, s51                                      // 000000006460: BF043321
	s_cbranch_scc0 label_127B                                  // 000000006464: BF8403A1
	global_atomic_add_f32 v4, v72, s[16:17]                    // 000000006468: DD348000 00104804
	v_add_u32_e64 v4, v4, s31                                  // 000000006470: D1340004 00003F04
	s_addk_i32 s33, 0x1                                        // 000000006478: B7210001
	s_cmp_lt_i32 s33, s51                                      // 00000000647C: BF043321
	s_cbranch_scc0 label_127B                                  // 000000006480: BF84039A
	global_atomic_add_f32 v4, v73, s[16:17]                    // 000000006484: DD348000 00104904
	v_add_u32_e64 v4, v4, s31                                  // 00000000648C: D1340004 00003F04
	s_addk_i32 s33, 0x1                                        // 000000006494: B7210001
	s_cmp_lt_i32 s33, s51                                      // 000000006498: BF043321
	s_cbranch_scc0 label_127B                                  // 00000000649C: BF840393
	global_atomic_add_f32 v4, v74, s[16:17]                    // 0000000064A0: DD348000 00104A04
	v_add_u32_e64 v4, v4, s31                                  // 0000000064A8: D1340004 00003F04
	s_addk_i32 s33, 0x1                                        // 0000000064B0: B7210001
	s_cmp_lt_i32 s33, s51                                      // 0000000064B4: BF043321
	s_cbranch_scc0 label_127B                                  // 0000000064B8: BF84038C
	global_atomic_add_f32 v4, v75, s[16:17]                    // 0000000064BC: DD348000 00104B04
	v_add_u32_e64 v4, v4, s31                                  // 0000000064C4: D1340004 00003F04
	s_addk_i32 s33, 0x1                                        // 0000000064CC: B7210001
	s_branch label_127B                                        // 0000000064D0: BF820386

00000000000064d4 <label_0EF5>:
	v_lshrrev_b32_e32 v4, 4, v0                                // 0000000064D4: 20080084
	v_mul_u32_u24_e32 v37, 34, v4                              // 0000000064D8: 104A08A2
	v_and_b32_e32 v4, 15, v0                                   // 0000000064DC: 2608008F
	v_mul_lo_u32 v5, 2, v4                                     // 0000000064E0: D2850005 00020882
	v_add_u32_e32 v37, v5, v37                                 // 0000000064E8: 684A4B05
	s_mul_i32 s31, s24, 0x88                                   // 0000000064EC: 921FFF18 00000088
	v_add_u32_e32 v37, s31, v37                                // 0000000064F4: 684A4A1F
	v_lshlrev_b32_e32 v37, 2, v37                              // 0000000064F8: 244A4A82
	v_and_b32_e32 v4, 31, v0                                   // 0000000064FC: 2608009F
	v_lshrrev_b32_e32 v5, 1, v4                                // 000000006500: 200A0881
	v_mul_u32_u24_e32 v40, 34, v5                              // 000000006504: 10500AA2
	v_and_b32_e32 v5, 1, v4                                    // 000000006508: 260A0881
	v_add_u32_e32 v40, v5, v40                                 // 00000000650C: 68505105
	v_lshrrev_b32_e32 v4, 5, v0                                // 000000006510: 20080085
	v_mul_u32_u24_e32 v4, 8, v4                                // 000000006514: 10080888
	v_add_u32_e32 v40, v4, v40                                 // 000000006518: 68505104
	s_mul_i32 s31, s24, 2                                      // 00000000651C: 921F8218
	v_add_u32_e32 v40, s31, v40                                // 000000006520: 6850501F
	v_lshlrev_b32_e32 v40, 2, v40                              // 000000006524: 24505082
	s_lshr_b32 s31, s51, 2                                     // 000000006528: 8F1F8233
	s_and_b32 s32, s51, 3                                      // 00000000652C: 86208333
	s_cmp_lt_u32 s24, s32                                      // 000000006530: BF0A2018
	s_cselect_b32 s32, 1, 0                                    // 000000006534: 85208081
	s_add_u32 s51, s31, s32                                    // 000000006538: 8033201F
	s_mov_b32 s33, 0                                           // 00000000653C: BEA10080
	s_waitcnt vmcnt(0) expcnt(0) lgkmcnt(0)                    // 000000006540: BF8C0000
	s_barrier                                                  // 000000006544: BF8A0000
	v_cmp_u_f32_e64 s[56:57], v44, v44                         // 000000006548: D0480038 0002592C
	v_add3_u32 v8, v44, v11, 1                                 // 000000006550: D1FF0008 0206172C
	v_cndmask_b32_e64 v4, v8, v10, s[56:57]                    // 000000006558: D1000004 00E21508
	v_cmp_u_f32_e64 s[56:57], v45, v45                         // 000000006560: D0480038 00025B2D
	v_add3_u32 v8, v45, v11, 1                                 // 000000006568: D1FF0008 0206172D
	v_cndmask_b32_e64 v5, v8, v10, s[56:57]                    // 000000006570: D1000005 00E21508
	v_perm_b32 v76, v5, v4, s35                                // 000000006578: D1ED004C 008E0905
	v_cmp_u_f32_e64 s[56:57], v46, v46                         // 000000006580: D0480038 00025D2E
	v_add3_u32 v8, v46, v11, 1                                 // 000000006588: D1FF0008 0206172E
	v_cndmask_b32_e64 v4, v8, v10, s[56:57]                    // 000000006590: D1000004 00E21508
	v_cmp_u_f32_e64 s[56:57], v47, v47                         // 000000006598: D0480038 00025F2F
	v_add3_u32 v8, v47, v11, 1                                 // 0000000065A0: D1FF0008 0206172F
	v_cndmask_b32_e64 v5, v8, v10, s[56:57]                    // 0000000065A8: D1000005 00E21508
	v_perm_b32 v77, v5, v4, s35                                // 0000000065B0: D1ED004D 008E0905
	v_cmp_u_f32_e64 s[56:57], v48, v48                         // 0000000065B8: D0480038 00026130
	v_add3_u32 v8, v48, v11, 1                                 // 0000000065C0: D1FF0008 02061730
	v_cndmask_b32_e64 v4, v8, v10, s[56:57]                    // 0000000065C8: D1000004 00E21508
	v_cmp_u_f32_e64 s[56:57], v49, v49                         // 0000000065D0: D0480038 00026331
	v_add3_u32 v8, v49, v11, 1                                 // 0000000065D8: D1FF0008 02061731
	v_cndmask_b32_e64 v5, v8, v10, s[56:57]                    // 0000000065E0: D1000005 00E21508
	v_perm_b32 v78, v5, v4, s35                                // 0000000065E8: D1ED004E 008E0905
	v_cmp_u_f32_e64 s[56:57], v50, v50                         // 0000000065F0: D0480038 00026532
	v_add3_u32 v8, v50, v11, 1                                 // 0000000065F8: D1FF0008 02061732
	v_cndmask_b32_e64 v4, v8, v10, s[56:57]                    // 000000006600: D1000004 00E21508
	v_cmp_u_f32_e64 s[56:57], v51, v51                         // 000000006608: D0480038 00026733
	v_add3_u32 v8, v51, v11, 1                                 // 000000006610: D1FF0008 02061733
	v_cndmask_b32_e64 v5, v8, v10, s[56:57]                    // 000000006618: D1000005 00E21508
	v_perm_b32 v79, v5, v4, s35                                // 000000006620: D1ED004F 008E0905
	v_cmp_u_f32_e64 s[56:57], v52, v52                         // 000000006628: D0480038 00026934
	v_add3_u32 v8, v52, v11, 1                                 // 000000006630: D1FF0008 02061734
	v_cndmask_b32_e64 v4, v8, v10, s[56:57]                    // 000000006638: D1000004 00E21508
	v_cmp_u_f32_e64 s[56:57], v53, v53                         // 000000006640: D0480038 00026B35
	v_add3_u32 v8, v53, v11, 1                                 // 000000006648: D1FF0008 02061735
	v_cndmask_b32_e64 v5, v8, v10, s[56:57]                    // 000000006650: D1000005 00E21508
	v_perm_b32 v80, v5, v4, s35                                // 000000006658: D1ED0050 008E0905
	v_cmp_u_f32_e64 s[56:57], v54, v54                         // 000000006660: D0480038 00026D36
	v_add3_u32 v8, v54, v11, 1                                 // 000000006668: D1FF0008 02061736
	v_cndmask_b32_e64 v4, v8, v10, s[56:57]                    // 000000006670: D1000004 00E21508
	v_cmp_u_f32_e64 s[56:57], v55, v55                         // 000000006678: D0480038 00026F37
	v_add3_u32 v8, v55, v11, 1                                 // 000000006680: D1FF0008 02061737
	v_cndmask_b32_e64 v5, v8, v10, s[56:57]                    // 000000006688: D1000005 00E21508
	v_perm_b32 v81, v5, v4, s35                                // 000000006690: D1ED0051 008E0905
	v_cmp_u_f32_e64 s[56:57], v56, v56                         // 000000006698: D0480038 00027138
	v_add3_u32 v8, v56, v11, 1                                 // 0000000066A0: D1FF0008 02061738
	v_cndmask_b32_e64 v4, v8, v10, s[56:57]                    // 0000000066A8: D1000004 00E21508
	v_cmp_u_f32_e64 s[56:57], v57, v57                         // 0000000066B0: D0480038 00027339
	v_add3_u32 v8, v57, v11, 1                                 // 0000000066B8: D1FF0008 02061739
	v_cndmask_b32_e64 v5, v8, v10, s[56:57]                    // 0000000066C0: D1000005 00E21508
	v_perm_b32 v82, v5, v4, s35                                // 0000000066C8: D1ED0052 008E0905
	v_cmp_u_f32_e64 s[56:57], v58, v58                         // 0000000066D0: D0480038 0002753A
	v_add3_u32 v8, v58, v11, 1                                 // 0000000066D8: D1FF0008 0206173A
	v_cndmask_b32_e64 v4, v8, v10, s[56:57]                    // 0000000066E0: D1000004 00E21508
	v_cmp_u_f32_e64 s[56:57], v59, v59                         // 0000000066E8: D0480038 0002773B
	v_add3_u32 v8, v59, v11, 1                                 // 0000000066F0: D1FF0008 0206173B
	v_cndmask_b32_e64 v5, v8, v10, s[56:57]                    // 0000000066F8: D1000005 00E21508
	v_perm_b32 v83, v5, v4, s35                                // 000000006700: D1ED0053 008E0905
	v_cmp_u_f32_e64 s[56:57], v60, v60                         // 000000006708: D0480038 0002793C
	v_add3_u32 v8, v60, v11, 1                                 // 000000006710: D1FF0008 0206173C
	v_cndmask_b32_e64 v4, v8, v10, s[56:57]                    // 000000006718: D1000004 00E21508
	v_cmp_u_f32_e64 s[56:57], v61, v61                         // 000000006720: D0480038 00027B3D
	v_add3_u32 v8, v61, v11, 1                                 // 000000006728: D1FF0008 0206173D
	v_cndmask_b32_e64 v5, v8, v10, s[56:57]                    // 000000006730: D1000005 00E21508
	v_perm_b32 v84, v5, v4, s35                                // 000000006738: D1ED0054 008E0905
	v_cmp_u_f32_e64 s[56:57], v62, v62                         // 000000006740: D0480038 00027D3E
	v_add3_u32 v8, v62, v11, 1                                 // 000000006748: D1FF0008 0206173E
	v_cndmask_b32_e64 v4, v8, v10, s[56:57]                    // 000000006750: D1000004 00E21508
	v_cmp_u_f32_e64 s[56:57], v63, v63                         // 000000006758: D0480038 00027F3F
	v_add3_u32 v8, v63, v11, 1                                 // 000000006760: D1FF0008 0206173F
	v_cndmask_b32_e64 v5, v8, v10, s[56:57]                    // 000000006768: D1000005 00E21508
	v_perm_b32 v85, v5, v4, s35                                // 000000006770: D1ED0055 008E0905
	v_cmp_u_f32_e64 s[56:57], v64, v64                         // 000000006778: D0480038 00028140
	v_add3_u32 v8, v64, v11, 1                                 // 000000006780: D1FF0008 02061740
	v_cndmask_b32_e64 v4, v8, v10, s[56:57]                    // 000000006788: D1000004 00E21508
	v_cmp_u_f32_e64 s[56:57], v65, v65                         // 000000006790: D0480038 00028341
	v_add3_u32 v8, v65, v11, 1                                 // 000000006798: D1FF0008 02061741
	v_cndmask_b32_e64 v5, v8, v10, s[56:57]                    // 0000000067A0: D1000005 00E21508
	v_perm_b32 v86, v5, v4, s35                                // 0000000067A8: D1ED0056 008E0905
	v_cmp_u_f32_e64 s[56:57], v66, v66                         // 0000000067B0: D0480038 00028542
	v_add3_u32 v8, v66, v11, 1                                 // 0000000067B8: D1FF0008 02061742
	v_cndmask_b32_e64 v4, v8, v10, s[56:57]                    // 0000000067C0: D1000004 00E21508
	v_cmp_u_f32_e64 s[56:57], v67, v67                         // 0000000067C8: D0480038 00028743
	v_add3_u32 v8, v67, v11, 1                                 // 0000000067D0: D1FF0008 02061743
	v_cndmask_b32_e64 v5, v8, v10, s[56:57]                    // 0000000067D8: D1000005 00E21508
	v_perm_b32 v87, v5, v4, s35                                // 0000000067E0: D1ED0057 008E0905
	v_cmp_u_f32_e64 s[56:57], v68, v68                         // 0000000067E8: D0480038 00028944
	v_add3_u32 v8, v68, v11, 1                                 // 0000000067F0: D1FF0008 02061744
	v_cndmask_b32_e64 v4, v8, v10, s[56:57]                    // 0000000067F8: D1000004 00E21508
	v_cmp_u_f32_e64 s[56:57], v69, v69                         // 000000006800: D0480038 00028B45
	v_add3_u32 v8, v69, v11, 1                                 // 000000006808: D1FF0008 02061745
	v_cndmask_b32_e64 v5, v8, v10, s[56:57]                    // 000000006810: D1000005 00E21508
	v_perm_b32 v88, v5, v4, s35                                // 000000006818: D1ED0058 008E0905
	v_cmp_u_f32_e64 s[56:57], v70, v70                         // 000000006820: D0480038 00028D46
	v_add3_u32 v8, v70, v11, 1                                 // 000000006828: D1FF0008 02061746
	v_cndmask_b32_e64 v4, v8, v10, s[56:57]                    // 000000006830: D1000004 00E21508
	v_cmp_u_f32_e64 s[56:57], v71, v71                         // 000000006838: D0480038 00028F47
	v_add3_u32 v8, v71, v11, 1                                 // 000000006840: D1FF0008 02061747
	v_cndmask_b32_e64 v5, v8, v10, s[56:57]                    // 000000006848: D1000005 00E21508
	v_perm_b32 v89, v5, v4, s35                                // 000000006850: D1ED0059 008E0905
	v_cmp_u_f32_e64 s[56:57], v72, v72                         // 000000006858: D0480038 00029148
	v_add3_u32 v8, v72, v11, 1                                 // 000000006860: D1FF0008 02061748
	v_cndmask_b32_e64 v4, v8, v10, s[56:57]                    // 000000006868: D1000004 00E21508
	v_cmp_u_f32_e64 s[56:57], v73, v73                         // 000000006870: D0480038 00029349
	v_add3_u32 v8, v73, v11, 1                                 // 000000006878: D1FF0008 02061749
	v_cndmask_b32_e64 v5, v8, v10, s[56:57]                    // 000000006880: D1000005 00E21508
	v_perm_b32 v90, v5, v4, s35                                // 000000006888: D1ED005A 008E0905
	v_cmp_u_f32_e64 s[56:57], v74, v74                         // 000000006890: D0480038 0002954A
	v_add3_u32 v8, v74, v11, 1                                 // 000000006898: D1FF0008 0206174A
	v_cndmask_b32_e64 v4, v8, v10, s[56:57]                    // 0000000068A0: D1000004 00E21508
	v_cmp_u_f32_e64 s[56:57], v75, v75                         // 0000000068A8: D0480038 0002974B
	v_add3_u32 v8, v75, v11, 1                                 // 0000000068B0: D1FF0008 0206174B
	v_cndmask_b32_e64 v5, v8, v10, s[56:57]                    // 0000000068B8: D1000005 00E21508
	v_perm_b32 v91, v5, v4, s35                                // 0000000068C0: D1ED005B 008E0905
	ds_write_b64 v37, v[76:77]                                 // 0000000068C8: D89A0000 00004C25
	ds_write_b64 v37, v[78:79] offset:2176                     // 0000000068D0: D89A0880 00004E25
	ds_write_b64 v37, v[80:81] offset:4352                     // 0000000068D8: D89A1100 00005025
	ds_write_b64 v37, v[82:83] offset:6528                     // 0000000068E0: D89A1980 00005225
	ds_write_b64 v37, v[84:85] offset:8704                     // 0000000068E8: D89A2200 00005425
	ds_write_b64 v37, v[86:87] offset:10880                    // 0000000068F0: D89A2A80 00005625
	ds_write_b64 v37, v[88:89] offset:13056                    // 0000000068F8: D89A3300 00005825
	ds_write_b64 v37, v[90:91] offset:15232                    // 000000006900: D89A3B80 00005A25
	s_waitcnt lgkmcnt(0)                                       // 000000006908: BF8CC07F
	s_barrier                                                  // 00000000690C: BF8A0000
	ds_read_b32 v76, v40                                       // 000000006910: D86C0000 4C000028
	ds_read_b32 v77, v40 offset:64                             // 000000006918: D86C0040 4D000028
	ds_read_b32 v78, v40 offset:2176                           // 000000006920: D86C0880 4E000028
	ds_read_b32 v79, v40 offset:2240                           // 000000006928: D86C08C0 4F000028
	ds_read_b32 v80, v40 offset:4352                           // 000000006930: D86C1100 50000028
	ds_read_b32 v81, v40 offset:4416                           // 000000006938: D86C1140 51000028
	ds_read_b32 v82, v40 offset:6528                           // 000000006940: D86C1980 52000028
	ds_read_b32 v83, v40 offset:6592                           // 000000006948: D86C19C0 53000028
	ds_read_b32 v84, v40 offset:8704                           // 000000006950: D86C2200 54000028
	ds_read_b32 v85, v40 offset:8768                           // 000000006958: D86C2240 55000028
	ds_read_b32 v86, v40 offset:10880                          // 000000006960: D86C2A80 56000028
	ds_read_b32 v87, v40 offset:10944                          // 000000006968: D86C2AC0 57000028
	ds_read_b32 v88, v40 offset:13056                          // 000000006970: D86C3300 58000028
	ds_read_b32 v89, v40 offset:13120                          // 000000006978: D86C3340 59000028
	ds_read_b32 v90, v40 offset:15232                          // 000000006980: D86C3B80 5A000028
	ds_read_b32 v91, v40 offset:15296                          // 000000006988: D86C3BC0 5B000028
	s_waitcnt lgkmcnt(0)                                       // 000000006990: BF8CC07F
	s_mul_i32 s31, s30, 8                                      // 000000006994: 921F881E
	v_mov_b32_e32 v4, v20                                      // 000000006998: 7E080314
	s_cmp_lt_i32 s33, s51                                      // 00000000699C: BF043321
	s_cbranch_scc0 label_127B                                  // 0000000069A0: BF840252
	s_mov_b32 s54, -1                                          // 0000000069A4: BEB600C1
	s_mov_b32 s55, 0                                           // 0000000069A8: BEB70080
	s_mov_b64 exec, s[54:55]                                   // 0000000069AC: BEFE0136
	global_atomic_pk_add_bf16 v4, v76, s[16:17]                // 0000000069B0: DD488000 00104C04
	s_addk_i32 s33, 0x1                                        // 0000000069B8: B7210001
	s_cmp_lt_i32 s33, s51                                      // 0000000069BC: BF043321
	s_cbranch_scc0 label_127B                                  // 0000000069C0: BF84024A
	s_mov_b32 s54, 0                                           // 0000000069C4: BEB60080
	s_mov_b32 s55, -1                                          // 0000000069C8: BEB700C1
	s_mov_b64 exec, s[54:55]                                   // 0000000069CC: BEFE0136
	global_atomic_pk_add_bf16 v4, v76, s[16:17]                // 0000000069D0: DD488000 00104C04
	s_addk_i32 s33, 0x1                                        // 0000000069D8: B7210001
	s_mov_b32 s54, -1                                          // 0000000069DC: BEB600C1
	s_mov_b32 s55, -1                                          // 0000000069E0: BEB700C1
	s_mov_b64 exec, s[54:55]                                   // 0000000069E4: BEFE0136
	v_add_u32_e64 v4, v4, s31                                  // 0000000069E8: D1340004 00003F04
	s_cmp_lt_i32 s33, s51                                      // 0000000069F0: BF043321
	s_cbranch_scc0 label_127B                                  // 0000000069F4: BF84023D
	s_mov_b32 s54, -1                                          // 0000000069F8: BEB600C1
	s_mov_b32 s55, 0                                           // 0000000069FC: BEB70080
	s_mov_b64 exec, s[54:55]                                   // 000000006A00: BEFE0136
	global_atomic_pk_add_bf16 v4, v77, s[16:17]                // 000000006A04: DD488000 00104D04
	s_addk_i32 s33, 0x1                                        // 000000006A0C: B7210001
	s_cmp_lt_i32 s33, s51                                      // 000000006A10: BF043321
	s_cbranch_scc0 label_127B                                  // 000000006A14: BF840235
	s_mov_b32 s54, 0                                           // 000000006A18: BEB60080
	s_mov_b32 s55, -1                                          // 000000006A1C: BEB700C1
	s_mov_b64 exec, s[54:55]                                   // 000000006A20: BEFE0136
	global_atomic_pk_add_bf16 v4, v77, s[16:17]                // 000000006A24: DD488000 00104D04
	s_addk_i32 s33, 0x1                                        // 000000006A2C: B7210001
	s_mov_b32 s54, -1                                          // 000000006A30: BEB600C1
	s_mov_b32 s55, -1                                          // 000000006A34: BEB700C1
	s_mov_b64 exec, s[54:55]                                   // 000000006A38: BEFE0136
	v_add_u32_e64 v4, v4, s31                                  // 000000006A3C: D1340004 00003F04
	s_cmp_lt_i32 s33, s51                                      // 000000006A44: BF043321
	s_cbranch_scc0 label_127B                                  // 000000006A48: BF840228
	s_mov_b32 s54, -1                                          // 000000006A4C: BEB600C1
	s_mov_b32 s55, 0                                           // 000000006A50: BEB70080
	s_mov_b64 exec, s[54:55]                                   // 000000006A54: BEFE0136
	global_atomic_pk_add_bf16 v4, v78, s[16:17]                // 000000006A58: DD488000 00104E04
	s_addk_i32 s33, 0x1                                        // 000000006A60: B7210001
	s_cmp_lt_i32 s33, s51                                      // 000000006A64: BF043321
	s_cbranch_scc0 label_127B                                  // 000000006A68: BF840220
	s_mov_b32 s54, 0                                           // 000000006A6C: BEB60080
	s_mov_b32 s55, -1                                          // 000000006A70: BEB700C1
	s_mov_b64 exec, s[54:55]                                   // 000000006A74: BEFE0136
	global_atomic_pk_add_bf16 v4, v78, s[16:17]                // 000000006A78: DD488000 00104E04
	s_addk_i32 s33, 0x1                                        // 000000006A80: B7210001
	s_mov_b32 s54, -1                                          // 000000006A84: BEB600C1
	s_mov_b32 s55, -1                                          // 000000006A88: BEB700C1
	s_mov_b64 exec, s[54:55]                                   // 000000006A8C: BEFE0136
	v_add_u32_e64 v4, v4, s31                                  // 000000006A90: D1340004 00003F04
	s_cmp_lt_i32 s33, s51                                      // 000000006A98: BF043321
	s_cbranch_scc0 label_127B                                  // 000000006A9C: BF840213
	s_mov_b32 s54, -1                                          // 000000006AA0: BEB600C1
	s_mov_b32 s55, 0                                           // 000000006AA4: BEB70080
	s_mov_b64 exec, s[54:55]                                   // 000000006AA8: BEFE0136
	global_atomic_pk_add_bf16 v4, v79, s[16:17]                // 000000006AAC: DD488000 00104F04
	s_addk_i32 s33, 0x1                                        // 000000006AB4: B7210001
	s_cmp_lt_i32 s33, s51                                      // 000000006AB8: BF043321
	s_cbranch_scc0 label_127B                                  // 000000006ABC: BF84020B
	s_mov_b32 s54, 0                                           // 000000006AC0: BEB60080
	s_mov_b32 s55, -1                                          // 000000006AC4: BEB700C1
	s_mov_b64 exec, s[54:55]                                   // 000000006AC8: BEFE0136
	global_atomic_pk_add_bf16 v4, v79, s[16:17]                // 000000006ACC: DD488000 00104F04
	s_addk_i32 s33, 0x1                                        // 000000006AD4: B7210001
	s_mov_b32 s54, -1                                          // 000000006AD8: BEB600C1
	s_mov_b32 s55, -1                                          // 000000006ADC: BEB700C1
	s_mov_b64 exec, s[54:55]                                   // 000000006AE0: BEFE0136
	v_add_u32_e64 v4, v4, s31                                  // 000000006AE4: D1340004 00003F04
	s_cmp_lt_i32 s33, s51                                      // 000000006AEC: BF043321
	s_cbranch_scc0 label_127B                                  // 000000006AF0: BF8401FE
	s_mov_b32 s54, -1                                          // 000000006AF4: BEB600C1
	s_mov_b32 s55, 0                                           // 000000006AF8: BEB70080
	s_mov_b64 exec, s[54:55]                                   // 000000006AFC: BEFE0136
	global_atomic_pk_add_bf16 v4, v80, s[16:17]                // 000000006B00: DD488000 00105004
	s_addk_i32 s33, 0x1                                        // 000000006B08: B7210001
	s_cmp_lt_i32 s33, s51                                      // 000000006B0C: BF043321
	s_cbranch_scc0 label_127B                                  // 000000006B10: BF8401F6
	s_mov_b32 s54, 0                                           // 000000006B14: BEB60080
	s_mov_b32 s55, -1                                          // 000000006B18: BEB700C1
	s_mov_b64 exec, s[54:55]                                   // 000000006B1C: BEFE0136
	global_atomic_pk_add_bf16 v4, v80, s[16:17]                // 000000006B20: DD488000 00105004
	s_addk_i32 s33, 0x1                                        // 000000006B28: B7210001
	s_mov_b32 s54, -1                                          // 000000006B2C: BEB600C1
	s_mov_b32 s55, -1                                          // 000000006B30: BEB700C1
	s_mov_b64 exec, s[54:55]                                   // 000000006B34: BEFE0136
	v_add_u32_e64 v4, v4, s31                                  // 000000006B38: D1340004 00003F04
	s_cmp_lt_i32 s33, s51                                      // 000000006B40: BF043321
	s_cbranch_scc0 label_127B                                  // 000000006B44: BF8401E9
	s_mov_b32 s54, -1                                          // 000000006B48: BEB600C1
	s_mov_b32 s55, 0                                           // 000000006B4C: BEB70080
	s_mov_b64 exec, s[54:55]                                   // 000000006B50: BEFE0136
	global_atomic_pk_add_bf16 v4, v81, s[16:17]                // 000000006B54: DD488000 00105104
	s_addk_i32 s33, 0x1                                        // 000000006B5C: B7210001
	s_cmp_lt_i32 s33, s51                                      // 000000006B60: BF043321
	s_cbranch_scc0 label_127B                                  // 000000006B64: BF8401E1
	s_mov_b32 s54, 0                                           // 000000006B68: BEB60080
	s_mov_b32 s55, -1                                          // 000000006B6C: BEB700C1
	s_mov_b64 exec, s[54:55]                                   // 000000006B70: BEFE0136
	global_atomic_pk_add_bf16 v4, v81, s[16:17]                // 000000006B74: DD488000 00105104
	s_addk_i32 s33, 0x1                                        // 000000006B7C: B7210001
	s_mov_b32 s54, -1                                          // 000000006B80: BEB600C1
	s_mov_b32 s55, -1                                          // 000000006B84: BEB700C1
	s_mov_b64 exec, s[54:55]                                   // 000000006B88: BEFE0136
	v_add_u32_e64 v4, v4, s31                                  // 000000006B8C: D1340004 00003F04
	s_cmp_lt_i32 s33, s51                                      // 000000006B94: BF043321
	s_cbranch_scc0 label_127B                                  // 000000006B98: BF8401D4
	s_mov_b32 s54, -1                                          // 000000006B9C: BEB600C1
	s_mov_b32 s55, 0                                           // 000000006BA0: BEB70080
	s_mov_b64 exec, s[54:55]                                   // 000000006BA4: BEFE0136
	global_atomic_pk_add_bf16 v4, v82, s[16:17]                // 000000006BA8: DD488000 00105204
	s_addk_i32 s33, 0x1                                        // 000000006BB0: B7210001
	s_cmp_lt_i32 s33, s51                                      // 000000006BB4: BF043321
	s_cbranch_scc0 label_127B                                  // 000000006BB8: BF8401CC
	s_mov_b32 s54, 0                                           // 000000006BBC: BEB60080
	s_mov_b32 s55, -1                                          // 000000006BC0: BEB700C1
	s_mov_b64 exec, s[54:55]                                   // 000000006BC4: BEFE0136
	global_atomic_pk_add_bf16 v4, v82, s[16:17]                // 000000006BC8: DD488000 00105204
	s_addk_i32 s33, 0x1                                        // 000000006BD0: B7210001
	s_mov_b32 s54, -1                                          // 000000006BD4: BEB600C1
	s_mov_b32 s55, -1                                          // 000000006BD8: BEB700C1
	s_mov_b64 exec, s[54:55]                                   // 000000006BDC: BEFE0136
	v_add_u32_e64 v4, v4, s31                                  // 000000006BE0: D1340004 00003F04
	s_cmp_lt_i32 s33, s51                                      // 000000006BE8: BF043321
	s_cbranch_scc0 label_127B                                  // 000000006BEC: BF8401BF
	s_mov_b32 s54, -1                                          // 000000006BF0: BEB600C1
	s_mov_b32 s55, 0                                           // 000000006BF4: BEB70080
	s_mov_b64 exec, s[54:55]                                   // 000000006BF8: BEFE0136
	global_atomic_pk_add_bf16 v4, v83, s[16:17]                // 000000006BFC: DD488000 00105304
	s_addk_i32 s33, 0x1                                        // 000000006C04: B7210001
	s_cmp_lt_i32 s33, s51                                      // 000000006C08: BF043321
	s_cbranch_scc0 label_127B                                  // 000000006C0C: BF8401B7
	s_mov_b32 s54, 0                                           // 000000006C10: BEB60080
	s_mov_b32 s55, -1                                          // 000000006C14: BEB700C1
	s_mov_b64 exec, s[54:55]                                   // 000000006C18: BEFE0136
	global_atomic_pk_add_bf16 v4, v83, s[16:17]                // 000000006C1C: DD488000 00105304
	s_addk_i32 s33, 0x1                                        // 000000006C24: B7210001
	s_mov_b32 s54, -1                                          // 000000006C28: BEB600C1
	s_mov_b32 s55, -1                                          // 000000006C2C: BEB700C1
	s_mov_b64 exec, s[54:55]                                   // 000000006C30: BEFE0136
	v_add_u32_e64 v4, v4, s31                                  // 000000006C34: D1340004 00003F04
	s_cmp_lt_i32 s33, s51                                      // 000000006C3C: BF043321
	s_cbranch_scc0 label_127B                                  // 000000006C40: BF8401AA
	s_mov_b32 s54, -1                                          // 000000006C44: BEB600C1
	s_mov_b32 s55, 0                                           // 000000006C48: BEB70080
	s_mov_b64 exec, s[54:55]                                   // 000000006C4C: BEFE0136
	global_atomic_pk_add_bf16 v4, v84, s[16:17]                // 000000006C50: DD488000 00105404
	s_addk_i32 s33, 0x1                                        // 000000006C58: B7210001
	s_cmp_lt_i32 s33, s51                                      // 000000006C5C: BF043321
	s_cbranch_scc0 label_127B                                  // 000000006C60: BF8401A2
	s_mov_b32 s54, 0                                           // 000000006C64: BEB60080
	s_mov_b32 s55, -1                                          // 000000006C68: BEB700C1
	s_mov_b64 exec, s[54:55]                                   // 000000006C6C: BEFE0136
	global_atomic_pk_add_bf16 v4, v84, s[16:17]                // 000000006C70: DD488000 00105404
	s_addk_i32 s33, 0x1                                        // 000000006C78: B7210001
	s_mov_b32 s54, -1                                          // 000000006C7C: BEB600C1
	s_mov_b32 s55, -1                                          // 000000006C80: BEB700C1
	s_mov_b64 exec, s[54:55]                                   // 000000006C84: BEFE0136
	v_add_u32_e64 v4, v4, s31                                  // 000000006C88: D1340004 00003F04
	s_cmp_lt_i32 s33, s51                                      // 000000006C90: BF043321
	s_cbranch_scc0 label_127B                                  // 000000006C94: BF840195
	s_mov_b32 s54, -1                                          // 000000006C98: BEB600C1
	s_mov_b32 s55, 0                                           // 000000006C9C: BEB70080
	s_mov_b64 exec, s[54:55]                                   // 000000006CA0: BEFE0136
	global_atomic_pk_add_bf16 v4, v85, s[16:17]                // 000000006CA4: DD488000 00105504
	s_addk_i32 s33, 0x1                                        // 000000006CAC: B7210001
	s_cmp_lt_i32 s33, s51                                      // 000000006CB0: BF043321
	s_cbranch_scc0 label_127B                                  // 000000006CB4: BF84018D
	s_mov_b32 s54, 0                                           // 000000006CB8: BEB60080
	s_mov_b32 s55, -1                                          // 000000006CBC: BEB700C1
	s_mov_b64 exec, s[54:55]                                   // 000000006CC0: BEFE0136
	global_atomic_pk_add_bf16 v4, v85, s[16:17]                // 000000006CC4: DD488000 00105504
	s_addk_i32 s33, 0x1                                        // 000000006CCC: B7210001
	s_mov_b32 s54, -1                                          // 000000006CD0: BEB600C1
	s_mov_b32 s55, -1                                          // 000000006CD4: BEB700C1
	s_mov_b64 exec, s[54:55]                                   // 000000006CD8: BEFE0136
	v_add_u32_e64 v4, v4, s31                                  // 000000006CDC: D1340004 00003F04
	s_cmp_lt_i32 s33, s51                                      // 000000006CE4: BF043321
	s_cbranch_scc0 label_127B                                  // 000000006CE8: BF840180
	s_mov_b32 s54, -1                                          // 000000006CEC: BEB600C1
	s_mov_b32 s55, 0                                           // 000000006CF0: BEB70080
	s_mov_b64 exec, s[54:55]                                   // 000000006CF4: BEFE0136
	global_atomic_pk_add_bf16 v4, v86, s[16:17]                // 000000006CF8: DD488000 00105604
	s_addk_i32 s33, 0x1                                        // 000000006D00: B7210001
	s_cmp_lt_i32 s33, s51                                      // 000000006D04: BF043321
	s_cbranch_scc0 label_127B                                  // 000000006D08: BF840178
	s_mov_b32 s54, 0                                           // 000000006D0C: BEB60080
	s_mov_b32 s55, -1                                          // 000000006D10: BEB700C1
	s_mov_b64 exec, s[54:55]                                   // 000000006D14: BEFE0136
	global_atomic_pk_add_bf16 v4, v86, s[16:17]                // 000000006D18: DD488000 00105604
	s_addk_i32 s33, 0x1                                        // 000000006D20: B7210001
	s_mov_b32 s54, -1                                          // 000000006D24: BEB600C1
	s_mov_b32 s55, -1                                          // 000000006D28: BEB700C1
	s_mov_b64 exec, s[54:55]                                   // 000000006D2C: BEFE0136
	v_add_u32_e64 v4, v4, s31                                  // 000000006D30: D1340004 00003F04
	s_cmp_lt_i32 s33, s51                                      // 000000006D38: BF043321
	s_cbranch_scc0 label_127B                                  // 000000006D3C: BF84016B
	s_mov_b32 s54, -1                                          // 000000006D40: BEB600C1
	s_mov_b32 s55, 0                                           // 000000006D44: BEB70080
	s_mov_b64 exec, s[54:55]                                   // 000000006D48: BEFE0136
	global_atomic_pk_add_bf16 v4, v87, s[16:17]                // 000000006D4C: DD488000 00105704
	s_addk_i32 s33, 0x1                                        // 000000006D54: B7210001
	s_cmp_lt_i32 s33, s51                                      // 000000006D58: BF043321
	s_cbranch_scc0 label_127B                                  // 000000006D5C: BF840163
	s_mov_b32 s54, 0                                           // 000000006D60: BEB60080
	s_mov_b32 s55, -1                                          // 000000006D64: BEB700C1
	s_mov_b64 exec, s[54:55]                                   // 000000006D68: BEFE0136
	global_atomic_pk_add_bf16 v4, v87, s[16:17]                // 000000006D6C: DD488000 00105704
	s_addk_i32 s33, 0x1                                        // 000000006D74: B7210001
	s_mov_b32 s54, -1                                          // 000000006D78: BEB600C1
	s_mov_b32 s55, -1                                          // 000000006D7C: BEB700C1
	s_mov_b64 exec, s[54:55]                                   // 000000006D80: BEFE0136
	v_add_u32_e64 v4, v4, s31                                  // 000000006D84: D1340004 00003F04
	s_cmp_lt_i32 s33, s51                                      // 000000006D8C: BF043321
	s_cbranch_scc0 label_127B                                  // 000000006D90: BF840156
	s_mov_b32 s54, -1                                          // 000000006D94: BEB600C1
	s_mov_b32 s55, 0                                           // 000000006D98: BEB70080
	s_mov_b64 exec, s[54:55]                                   // 000000006D9C: BEFE0136
	global_atomic_pk_add_bf16 v4, v88, s[16:17]                // 000000006DA0: DD488000 00105804
	s_addk_i32 s33, 0x1                                        // 000000006DA8: B7210001
	s_cmp_lt_i32 s33, s51                                      // 000000006DAC: BF043321
	s_cbranch_scc0 label_127B                                  // 000000006DB0: BF84014E
	s_mov_b32 s54, 0                                           // 000000006DB4: BEB60080
	s_mov_b32 s55, -1                                          // 000000006DB8: BEB700C1
	s_mov_b64 exec, s[54:55]                                   // 000000006DBC: BEFE0136
	global_atomic_pk_add_bf16 v4, v88, s[16:17]                // 000000006DC0: DD488000 00105804
	s_addk_i32 s33, 0x1                                        // 000000006DC8: B7210001
	s_mov_b32 s54, -1                                          // 000000006DCC: BEB600C1
	s_mov_b32 s55, -1                                          // 000000006DD0: BEB700C1
	s_mov_b64 exec, s[54:55]                                   // 000000006DD4: BEFE0136
	v_add_u32_e64 v4, v4, s31                                  // 000000006DD8: D1340004 00003F04
	s_cmp_lt_i32 s33, s51                                      // 000000006DE0: BF043321
	s_cbranch_scc0 label_127B                                  // 000000006DE4: BF840141
	s_mov_b32 s54, -1                                          // 000000006DE8: BEB600C1
	s_mov_b32 s55, 0                                           // 000000006DEC: BEB70080
	s_mov_b64 exec, s[54:55]                                   // 000000006DF0: BEFE0136
	global_atomic_pk_add_bf16 v4, v89, s[16:17]                // 000000006DF4: DD488000 00105904
	s_addk_i32 s33, 0x1                                        // 000000006DFC: B7210001
	s_cmp_lt_i32 s33, s51                                      // 000000006E00: BF043321
	s_cbranch_scc0 label_127B                                  // 000000006E04: BF840139
	s_mov_b32 s54, 0                                           // 000000006E08: BEB60080
	s_mov_b32 s55, -1                                          // 000000006E0C: BEB700C1
	s_mov_b64 exec, s[54:55]                                   // 000000006E10: BEFE0136
	global_atomic_pk_add_bf16 v4, v89, s[16:17]                // 000000006E14: DD488000 00105904
	s_addk_i32 s33, 0x1                                        // 000000006E1C: B7210001
	s_mov_b32 s54, -1                                          // 000000006E20: BEB600C1
	s_mov_b32 s55, -1                                          // 000000006E24: BEB700C1
	s_mov_b64 exec, s[54:55]                                   // 000000006E28: BEFE0136
	v_add_u32_e64 v4, v4, s31                                  // 000000006E2C: D1340004 00003F04
	s_cmp_lt_i32 s33, s51                                      // 000000006E34: BF043321
	s_cbranch_scc0 label_127B                                  // 000000006E38: BF84012C
	s_mov_b32 s54, -1                                          // 000000006E3C: BEB600C1
	s_mov_b32 s55, 0                                           // 000000006E40: BEB70080
	s_mov_b64 exec, s[54:55]                                   // 000000006E44: BEFE0136
	global_atomic_pk_add_bf16 v4, v90, s[16:17]                // 000000006E48: DD488000 00105A04
	s_addk_i32 s33, 0x1                                        // 000000006E50: B7210001
	s_cmp_lt_i32 s33, s51                                      // 000000006E54: BF043321
	s_cbranch_scc0 label_127B                                  // 000000006E58: BF840124
	s_mov_b32 s54, 0                                           // 000000006E5C: BEB60080
	s_mov_b32 s55, -1                                          // 000000006E60: BEB700C1
	s_mov_b64 exec, s[54:55]                                   // 000000006E64: BEFE0136
	global_atomic_pk_add_bf16 v4, v90, s[16:17]                // 000000006E68: DD488000 00105A04
	s_addk_i32 s33, 0x1                                        // 000000006E70: B7210001
	s_mov_b32 s54, -1                                          // 000000006E74: BEB600C1
	s_mov_b32 s55, -1                                          // 000000006E78: BEB700C1
	s_mov_b64 exec, s[54:55]                                   // 000000006E7C: BEFE0136
	v_add_u32_e64 v4, v4, s31                                  // 000000006E80: D1340004 00003F04
	s_cmp_lt_i32 s33, s51                                      // 000000006E88: BF043321
	s_cbranch_scc0 label_127B                                  // 000000006E8C: BF840117
	s_mov_b32 s54, -1                                          // 000000006E90: BEB600C1
	s_mov_b32 s55, 0                                           // 000000006E94: BEB70080
	s_mov_b64 exec, s[54:55]                                   // 000000006E98: BEFE0136
	global_atomic_pk_add_bf16 v4, v91, s[16:17]                // 000000006E9C: DD488000 00105B04
	s_addk_i32 s33, 0x1                                        // 000000006EA4: B7210001
	s_cmp_lt_i32 s33, s51                                      // 000000006EA8: BF043321
	s_cbranch_scc0 label_127B                                  // 000000006EAC: BF84010F
	s_mov_b32 s54, 0                                           // 000000006EB0: BEB60080
	s_mov_b32 s55, -1                                          // 000000006EB4: BEB700C1
	s_mov_b64 exec, s[54:55]                                   // 000000006EB8: BEFE0136
	global_atomic_pk_add_bf16 v4, v91, s[16:17]                // 000000006EBC: DD488000 00105B04
	s_addk_i32 s33, 0x1                                        // 000000006EC4: B7210001
	s_mov_b32 s54, -1                                          // 000000006EC8: BEB600C1
	s_mov_b32 s55, -1                                          // 000000006ECC: BEB700C1
	s_mov_b64 exec, s[54:55]                                   // 000000006ED0: BEFE0136
	v_add_u32_e64 v4, v4, s31                                  // 000000006ED4: D1340004 00003F04
	s_branch label_127B                                        // 000000006EDC: BF820103

0000000000006ee0 <label_1178>:
	s_cmp_lt_u32 s50, 1                                        // 000000006EE0: BF0A8132
	s_cbranch_scc0 label_118B                                  // 000000006EE4: BF840011
	buffer_store_dwordx4 v[44:47], v12, s[16:19], 0 offen      // 000000006EE8: E07C1000 80042C0C
	buffer_store_dwordx4 v[48:51], v13, s[16:19], 0 offen      // 000000006EF0: E07C1000 8004300D
	buffer_store_dwordx4 v[52:55], v14, s[16:19], 0 offen      // 000000006EF8: E07C1000 8004340E
	buffer_store_dwordx4 v[56:59], v15, s[16:19], 0 offen      // 000000006F00: E07C1000 8004380F
	buffer_store_dwordx4 v[60:63], v16, s[16:19], 0 offen      // 000000006F08: E07C1000 80043C10
	buffer_store_dwordx4 v[64:67], v17, s[16:19], 0 offen      // 000000006F10: E07C1000 80044011
	buffer_store_dwordx4 v[68:71], v18, s[16:19], 0 offen      // 000000006F18: E07C1000 80044412
	buffer_store_dwordx4 v[72:75], v19, s[16:19], 0 offen      // 000000006F20: E07C1000 80044813
	s_branch label_127B                                        // 000000006F28: BF8200F0

0000000000006f2c <label_118B>:
	v_cmp_u_f32_e64 s[56:57], v44, v44                         // 000000006F2C: D0480038 0002592C
	v_add3_u32 v8, v44, v11, 1                                 // 000000006F34: D1FF0008 0206172C
	v_cndmask_b32_e64 v4, v8, v10, s[56:57]                    // 000000006F3C: D1000004 00E21508
	v_cmp_u_f32_e64 s[56:57], v45, v45                         // 000000006F44: D0480038 00025B2D
	v_add3_u32 v8, v45, v11, 1                                 // 000000006F4C: D1FF0008 0206172D
	v_cndmask_b32_e64 v5, v8, v10, s[56:57]                    // 000000006F54: D1000005 00E21508
	v_perm_b32 v76, v5, v4, s35                                // 000000006F5C: D1ED004C 008E0905
	v_cmp_u_f32_e64 s[56:57], v46, v46                         // 000000006F64: D0480038 00025D2E
	v_add3_u32 v8, v46, v11, 1                                 // 000000006F6C: D1FF0008 0206172E
	v_cndmask_b32_e64 v4, v8, v10, s[56:57]                    // 000000006F74: D1000004 00E21508
	v_cmp_u_f32_e64 s[56:57], v47, v47                         // 000000006F7C: D0480038 00025F2F
	v_add3_u32 v8, v47, v11, 1                                 // 000000006F84: D1FF0008 0206172F
	v_cndmask_b32_e64 v5, v8, v10, s[56:57]                    // 000000006F8C: D1000005 00E21508
	v_perm_b32 v77, v5, v4, s35                                // 000000006F94: D1ED004D 008E0905
	buffer_store_dwordx2 v[76:77], v12, s[16:19], 0 offen      // 000000006F9C: E0741000 80044C0C
	v_cmp_u_f32_e64 s[56:57], v48, v48                         // 000000006FA4: D0480038 00026130
	v_add3_u32 v8, v48, v11, 1                                 // 000000006FAC: D1FF0008 02061730
	v_cndmask_b32_e64 v4, v8, v10, s[56:57]                    // 000000006FB4: D1000004 00E21508
	v_cmp_u_f32_e64 s[56:57], v49, v49                         // 000000006FBC: D0480038 00026331
	v_add3_u32 v8, v49, v11, 1                                 // 000000006FC4: D1FF0008 02061731
	v_cndmask_b32_e64 v5, v8, v10, s[56:57]                    // 000000006FCC: D1000005 00E21508
	v_perm_b32 v78, v5, v4, s35                                // 000000006FD4: D1ED004E 008E0905
	v_cmp_u_f32_e64 s[56:57], v50, v50                         // 000000006FDC: D0480038 00026532
	v_add3_u32 v8, v50, v11, 1                                 // 000000006FE4: D1FF0008 02061732
	v_cndmask_b32_e64 v4, v8, v10, s[56:57]                    // 000000006FEC: D1000004 00E21508
	v_cmp_u_f32_e64 s[56:57], v51, v51                         // 000000006FF4: D0480038 00026733
	v_add3_u32 v8, v51, v11, 1                                 // 000000006FFC: D1FF0008 02061733
	v_cndmask_b32_e64 v5, v8, v10, s[56:57]                    // 000000007004: D1000005 00E21508
	v_perm_b32 v79, v5, v4, s35                                // 00000000700C: D1ED004F 008E0905
	buffer_store_dwordx2 v[78:79], v13, s[16:19], 0 offen      // 000000007014: E0741000 80044E0D
	v_cmp_u_f32_e64 s[56:57], v52, v52                         // 00000000701C: D0480038 00026934
	v_add3_u32 v8, v52, v11, 1                                 // 000000007024: D1FF0008 02061734
	v_cndmask_b32_e64 v4, v8, v10, s[56:57]                    // 00000000702C: D1000004 00E21508
	v_cmp_u_f32_e64 s[56:57], v53, v53                         // 000000007034: D0480038 00026B35
	v_add3_u32 v8, v53, v11, 1                                 // 00000000703C: D1FF0008 02061735
	v_cndmask_b32_e64 v5, v8, v10, s[56:57]                    // 000000007044: D1000005 00E21508
	v_perm_b32 v80, v5, v4, s35                                // 00000000704C: D1ED0050 008E0905
	v_cmp_u_f32_e64 s[56:57], v54, v54                         // 000000007054: D0480038 00026D36
	v_add3_u32 v8, v54, v11, 1                                 // 00000000705C: D1FF0008 02061736
	v_cndmask_b32_e64 v4, v8, v10, s[56:57]                    // 000000007064: D1000004 00E21508
	v_cmp_u_f32_e64 s[56:57], v55, v55                         // 00000000706C: D0480038 00026F37
	v_add3_u32 v8, v55, v11, 1                                 // 000000007074: D1FF0008 02061737
	v_cndmask_b32_e64 v5, v8, v10, s[56:57]                    // 00000000707C: D1000005 00E21508
	v_perm_b32 v81, v5, v4, s35                                // 000000007084: D1ED0051 008E0905
	buffer_store_dwordx2 v[80:81], v14, s[16:19], 0 offen      // 00000000708C: E0741000 8004500E
	v_cmp_u_f32_e64 s[56:57], v56, v56                         // 000000007094: D0480038 00027138
	v_add3_u32 v8, v56, v11, 1                                 // 00000000709C: D1FF0008 02061738
	v_cndmask_b32_e64 v4, v8, v10, s[56:57]                    // 0000000070A4: D1000004 00E21508
	v_cmp_u_f32_e64 s[56:57], v57, v57                         // 0000000070AC: D0480038 00027339
	v_add3_u32 v8, v57, v11, 1                                 // 0000000070B4: D1FF0008 02061739
	v_cndmask_b32_e64 v5, v8, v10, s[56:57]                    // 0000000070BC: D1000005 00E21508
	v_perm_b32 v82, v5, v4, s35                                // 0000000070C4: D1ED0052 008E0905
	v_cmp_u_f32_e64 s[56:57], v58, v58                         // 0000000070CC: D0480038 0002753A
	v_add3_u32 v8, v58, v11, 1                                 // 0000000070D4: D1FF0008 0206173A
	v_cndmask_b32_e64 v4, v8, v10, s[56:57]                    // 0000000070DC: D1000004 00E21508
	v_cmp_u_f32_e64 s[56:57], v59, v59                         // 0000000070E4: D0480038 0002773B
	v_add3_u32 v8, v59, v11, 1                                 // 0000000070EC: D1FF0008 0206173B
	v_cndmask_b32_e64 v5, v8, v10, s[56:57]                    // 0000000070F4: D1000005 00E21508
	v_perm_b32 v83, v5, v4, s35                                // 0000000070FC: D1ED0053 008E0905
	buffer_store_dwordx2 v[82:83], v15, s[16:19], 0 offen      // 000000007104: E0741000 8004520F
	v_cmp_u_f32_e64 s[56:57], v60, v60                         // 00000000710C: D0480038 0002793C
	v_add3_u32 v8, v60, v11, 1                                 // 000000007114: D1FF0008 0206173C
	v_cndmask_b32_e64 v4, v8, v10, s[56:57]                    // 00000000711C: D1000004 00E21508
	v_cmp_u_f32_e64 s[56:57], v61, v61                         // 000000007124: D0480038 00027B3D
	v_add3_u32 v8, v61, v11, 1                                 // 00000000712C: D1FF0008 0206173D
	v_cndmask_b32_e64 v5, v8, v10, s[56:57]                    // 000000007134: D1000005 00E21508
	v_perm_b32 v84, v5, v4, s35                                // 00000000713C: D1ED0054 008E0905
	v_cmp_u_f32_e64 s[56:57], v62, v62                         // 000000007144: D0480038 00027D3E
	v_add3_u32 v8, v62, v11, 1                                 // 00000000714C: D1FF0008 0206173E
	v_cndmask_b32_e64 v4, v8, v10, s[56:57]                    // 000000007154: D1000004 00E21508
	v_cmp_u_f32_e64 s[56:57], v63, v63                         // 00000000715C: D0480038 00027F3F
	v_add3_u32 v8, v63, v11, 1                                 // 000000007164: D1FF0008 0206173F
	v_cndmask_b32_e64 v5, v8, v10, s[56:57]                    // 00000000716C: D1000005 00E21508
	v_perm_b32 v85, v5, v4, s35                                // 000000007174: D1ED0055 008E0905
	buffer_store_dwordx2 v[84:85], v16, s[16:19], 0 offen      // 00000000717C: E0741000 80045410
	v_cmp_u_f32_e64 s[56:57], v64, v64                         // 000000007184: D0480038 00028140
	v_add3_u32 v8, v64, v11, 1                                 // 00000000718C: D1FF0008 02061740
	v_cndmask_b32_e64 v4, v8, v10, s[56:57]                    // 000000007194: D1000004 00E21508
	v_cmp_u_f32_e64 s[56:57], v65, v65                         // 00000000719C: D0480038 00028341
	v_add3_u32 v8, v65, v11, 1                                 // 0000000071A4: D1FF0008 02061741
	v_cndmask_b32_e64 v5, v8, v10, s[56:57]                    // 0000000071AC: D1000005 00E21508
	v_perm_b32 v86, v5, v4, s35                                // 0000000071B4: D1ED0056 008E0905
	v_cmp_u_f32_e64 s[56:57], v66, v66                         // 0000000071BC: D0480038 00028542
	v_add3_u32 v8, v66, v11, 1                                 // 0000000071C4: D1FF0008 02061742
	v_cndmask_b32_e64 v4, v8, v10, s[56:57]                    // 0000000071CC: D1000004 00E21508
	v_cmp_u_f32_e64 s[56:57], v67, v67                         // 0000000071D4: D0480038 00028743
	v_add3_u32 v8, v67, v11, 1                                 // 0000000071DC: D1FF0008 02061743
	v_cndmask_b32_e64 v5, v8, v10, s[56:57]                    // 0000000071E4: D1000005 00E21508
	v_perm_b32 v87, v5, v4, s35                                // 0000000071EC: D1ED0057 008E0905
	buffer_store_dwordx2 v[86:87], v17, s[16:19], 0 offen      // 0000000071F4: E0741000 80045611
	v_cmp_u_f32_e64 s[56:57], v68, v68                         // 0000000071FC: D0480038 00028944
	v_add3_u32 v8, v68, v11, 1                                 // 000000007204: D1FF0008 02061744
	v_cndmask_b32_e64 v4, v8, v10, s[56:57]                    // 00000000720C: D1000004 00E21508
	v_cmp_u_f32_e64 s[56:57], v69, v69                         // 000000007214: D0480038 00028B45
	v_add3_u32 v8, v69, v11, 1                                 // 00000000721C: D1FF0008 02061745
	v_cndmask_b32_e64 v5, v8, v10, s[56:57]                    // 000000007224: D1000005 00E21508
	v_perm_b32 v88, v5, v4, s35                                // 00000000722C: D1ED0058 008E0905
	v_cmp_u_f32_e64 s[56:57], v70, v70                         // 000000007234: D0480038 00028D46
	v_add3_u32 v8, v70, v11, 1                                 // 00000000723C: D1FF0008 02061746
	v_cndmask_b32_e64 v4, v8, v10, s[56:57]                    // 000000007244: D1000004 00E21508
	v_cmp_u_f32_e64 s[56:57], v71, v71                         // 00000000724C: D0480038 00028F47
	v_add3_u32 v8, v71, v11, 1                                 // 000000007254: D1FF0008 02061747
	v_cndmask_b32_e64 v5, v8, v10, s[56:57]                    // 00000000725C: D1000005 00E21508
	v_perm_b32 v89, v5, v4, s35                                // 000000007264: D1ED0059 008E0905
	buffer_store_dwordx2 v[88:89], v18, s[16:19], 0 offen      // 00000000726C: E0741000 80045812
	v_cmp_u_f32_e64 s[56:57], v72, v72                         // 000000007274: D0480038 00029148
	v_add3_u32 v8, v72, v11, 1                                 // 00000000727C: D1FF0008 02061748
	v_cndmask_b32_e64 v4, v8, v10, s[56:57]                    // 000000007284: D1000004 00E21508
	v_cmp_u_f32_e64 s[56:57], v73, v73                         // 00000000728C: D0480038 00029349
	v_add3_u32 v8, v73, v11, 1                                 // 000000007294: D1FF0008 02061749
	v_cndmask_b32_e64 v5, v8, v10, s[56:57]                    // 00000000729C: D1000005 00E21508
	v_perm_b32 v90, v5, v4, s35                                // 0000000072A4: D1ED005A 008E0905
	v_cmp_u_f32_e64 s[56:57], v74, v74                         // 0000000072AC: D0480038 0002954A
	v_add3_u32 v8, v74, v11, 1                                 // 0000000072B4: D1FF0008 0206174A
	v_cndmask_b32_e64 v4, v8, v10, s[56:57]                    // 0000000072BC: D1000004 00E21508
	v_cmp_u_f32_e64 s[56:57], v75, v75                         // 0000000072C4: D0480038 0002974B
	v_add3_u32 v8, v75, v11, 1                                 // 0000000072CC: D1FF0008 0206174B
	v_cndmask_b32_e64 v5, v8, v10, s[56:57]                    // 0000000072D4: D1000005 00E21508
	v_perm_b32 v91, v5, v4, s35                                // 0000000072DC: D1ED005B 008E0905
	buffer_store_dwordx2 v[90:91], v19, s[16:19], 0 offen      // 0000000072E4: E0741000 80045A13

00000000000072ec <label_127B>:
	s_waitcnt vmcnt(0) expcnt(0) lgkmcnt(0)                    // 0000000072EC: BF8C0000
	s_endpgm                                                   // 0000000072F0: BF810000
